;; amdgpu-corpus repo=ROCm/hipCUB kind=compiled arch=gfx1100 opt=O3
	.text
	.amdgcn_target "amdgcn-amd-amdhsa--gfx1100"
	.amdhsa_code_object_version 6
	.section	.text._Z20warp_exchange_kernelILj128ELj4ELj16ELN6hipcub21WarpExchangeAlgorithmE0E18StripedToBlockedOpiEvPT4_,"axG",@progbits,_Z20warp_exchange_kernelILj128ELj4ELj16ELN6hipcub21WarpExchangeAlgorithmE0E18StripedToBlockedOpiEvPT4_,comdat
	.protected	_Z20warp_exchange_kernelILj128ELj4ELj16ELN6hipcub21WarpExchangeAlgorithmE0E18StripedToBlockedOpiEvPT4_ ; -- Begin function _Z20warp_exchange_kernelILj128ELj4ELj16ELN6hipcub21WarpExchangeAlgorithmE0E18StripedToBlockedOpiEvPT4_
	.globl	_Z20warp_exchange_kernelILj128ELj4ELj16ELN6hipcub21WarpExchangeAlgorithmE0E18StripedToBlockedOpiEvPT4_
	.p2align	8
	.type	_Z20warp_exchange_kernelILj128ELj4ELj16ELN6hipcub21WarpExchangeAlgorithmE0E18StripedToBlockedOpiEvPT4_,@function
_Z20warp_exchange_kernelILj128ELj4ELj16ELN6hipcub21WarpExchangeAlgorithmE0E18StripedToBlockedOpiEvPT4_: ; @_Z20warp_exchange_kernelILj128ELj4ELj16ELN6hipcub21WarpExchangeAlgorithmE0E18StripedToBlockedOpiEvPT4_
; %bb.0:
	v_mbcnt_lo_u32_b32 v1, -1, 0
	v_dual_mov_b32 v5, 0 :: v_dual_lshlrev_b32 v2, 4, v0
	s_load_b64 s[0:1], s[0:1], 0x0
	s_delay_alu instid0(VALU_DEP_2) | instskip(NEXT) | instid1(VALU_DEP_1)
	v_dual_mov_b32 v4, 1 :: v_dual_and_b32 v1, 15, v1
	v_dual_mov_b32 v6, 3 :: v_dual_lshlrev_b32 v3, 2, v1
	s_delay_alu instid0(VALU_DEP_1) | instskip(SKIP_1) | instid1(VALU_DEP_2)
	v_and_or_b32 v2, 0x700, v2, v3
	v_mov_b32_e32 v3, 2
	v_mad_u32_u24 v1, v1, 12, v2
	ds_store_2addr_b32 v2, v5, v4 offset1:16
	v_lshlrev_b32_e32 v4, 2, v0
	ds_store_2addr_b32 v2, v3, v6 offset0:32 offset1:48
	; wave barrier
	ds_load_b128 v[0:3], v1
	v_lshl_or_b32 v4, s15, 9, v4
	s_delay_alu instid0(VALU_DEP_1) | instskip(SKIP_1) | instid1(VALU_DEP_1)
	v_lshlrev_b64 v[4:5], 2, v[4:5]
	s_waitcnt lgkmcnt(0)
	v_add_co_u32 v4, vcc_lo, s0, v4
	s_delay_alu instid0(VALU_DEP_2)
	v_add_co_ci_u32_e32 v5, vcc_lo, s1, v5, vcc_lo
	global_store_b128 v[4:5], v[0:3], off
	s_nop 0
	s_sendmsg sendmsg(MSG_DEALLOC_VGPRS)
	s_endpgm
	.section	.rodata,"a",@progbits
	.p2align	6, 0x0
	.amdhsa_kernel _Z20warp_exchange_kernelILj128ELj4ELj16ELN6hipcub21WarpExchangeAlgorithmE0E18StripedToBlockedOpiEvPT4_
		.amdhsa_group_segment_fixed_size 2048
		.amdhsa_private_segment_fixed_size 0
		.amdhsa_kernarg_size 8
		.amdhsa_user_sgpr_count 15
		.amdhsa_user_sgpr_dispatch_ptr 0
		.amdhsa_user_sgpr_queue_ptr 0
		.amdhsa_user_sgpr_kernarg_segment_ptr 1
		.amdhsa_user_sgpr_dispatch_id 0
		.amdhsa_user_sgpr_private_segment_size 0
		.amdhsa_wavefront_size32 1
		.amdhsa_uses_dynamic_stack 0
		.amdhsa_enable_private_segment 0
		.amdhsa_system_sgpr_workgroup_id_x 1
		.amdhsa_system_sgpr_workgroup_id_y 0
		.amdhsa_system_sgpr_workgroup_id_z 0
		.amdhsa_system_sgpr_workgroup_info 0
		.amdhsa_system_vgpr_workitem_id 0
		.amdhsa_next_free_vgpr 7
		.amdhsa_next_free_sgpr 16
		.amdhsa_reserve_vcc 1
		.amdhsa_float_round_mode_32 0
		.amdhsa_float_round_mode_16_64 0
		.amdhsa_float_denorm_mode_32 3
		.amdhsa_float_denorm_mode_16_64 3
		.amdhsa_dx10_clamp 1
		.amdhsa_ieee_mode 1
		.amdhsa_fp16_overflow 0
		.amdhsa_workgroup_processor_mode 1
		.amdhsa_memory_ordered 1
		.amdhsa_forward_progress 0
		.amdhsa_shared_vgpr_count 0
		.amdhsa_exception_fp_ieee_invalid_op 0
		.amdhsa_exception_fp_denorm_src 0
		.amdhsa_exception_fp_ieee_div_zero 0
		.amdhsa_exception_fp_ieee_overflow 0
		.amdhsa_exception_fp_ieee_underflow 0
		.amdhsa_exception_fp_ieee_inexact 0
		.amdhsa_exception_int_div_zero 0
	.end_amdhsa_kernel
	.section	.text._Z20warp_exchange_kernelILj128ELj4ELj16ELN6hipcub21WarpExchangeAlgorithmE0E18StripedToBlockedOpiEvPT4_,"axG",@progbits,_Z20warp_exchange_kernelILj128ELj4ELj16ELN6hipcub21WarpExchangeAlgorithmE0E18StripedToBlockedOpiEvPT4_,comdat
.Lfunc_end0:
	.size	_Z20warp_exchange_kernelILj128ELj4ELj16ELN6hipcub21WarpExchangeAlgorithmE0E18StripedToBlockedOpiEvPT4_, .Lfunc_end0-_Z20warp_exchange_kernelILj128ELj4ELj16ELN6hipcub21WarpExchangeAlgorithmE0E18StripedToBlockedOpiEvPT4_
                                        ; -- End function
	.section	.AMDGPU.csdata,"",@progbits
; Kernel info:
; codeLenInByte = 160
; NumSgprs: 18
; NumVgprs: 7
; ScratchSize: 0
; MemoryBound: 0
; FloatMode: 240
; IeeeMode: 1
; LDSByteSize: 2048 bytes/workgroup (compile time only)
; SGPRBlocks: 2
; VGPRBlocks: 0
; NumSGPRsForWavesPerEU: 18
; NumVGPRsForWavesPerEU: 7
; Occupancy: 16
; WaveLimiterHint : 0
; COMPUTE_PGM_RSRC2:SCRATCH_EN: 0
; COMPUTE_PGM_RSRC2:USER_SGPR: 15
; COMPUTE_PGM_RSRC2:TRAP_HANDLER: 0
; COMPUTE_PGM_RSRC2:TGID_X_EN: 1
; COMPUTE_PGM_RSRC2:TGID_Y_EN: 0
; COMPUTE_PGM_RSRC2:TGID_Z_EN: 0
; COMPUTE_PGM_RSRC2:TIDIG_COMP_CNT: 0
	.section	.text._Z20warp_exchange_kernelILj128ELj4ELj16ELN6hipcub21WarpExchangeAlgorithmE0E18BlockedToStripedOpiEvPT4_,"axG",@progbits,_Z20warp_exchange_kernelILj128ELj4ELj16ELN6hipcub21WarpExchangeAlgorithmE0E18BlockedToStripedOpiEvPT4_,comdat
	.protected	_Z20warp_exchange_kernelILj128ELj4ELj16ELN6hipcub21WarpExchangeAlgorithmE0E18BlockedToStripedOpiEvPT4_ ; -- Begin function _Z20warp_exchange_kernelILj128ELj4ELj16ELN6hipcub21WarpExchangeAlgorithmE0E18BlockedToStripedOpiEvPT4_
	.globl	_Z20warp_exchange_kernelILj128ELj4ELj16ELN6hipcub21WarpExchangeAlgorithmE0E18BlockedToStripedOpiEvPT4_
	.p2align	8
	.type	_Z20warp_exchange_kernelILj128ELj4ELj16ELN6hipcub21WarpExchangeAlgorithmE0E18BlockedToStripedOpiEvPT4_,@function
_Z20warp_exchange_kernelILj128ELj4ELj16ELN6hipcub21WarpExchangeAlgorithmE0E18BlockedToStripedOpiEvPT4_: ; @_Z20warp_exchange_kernelILj128ELj4ELj16ELN6hipcub21WarpExchangeAlgorithmE0E18BlockedToStripedOpiEvPT4_
; %bb.0:
	v_mbcnt_lo_u32_b32 v1, -1, 0
	v_lshlrev_b32_e32 v3, 4, v0
	s_load_b64 s[0:1], s[0:1], 0x0
	v_mov_b32_e32 v2, 1
	v_lshlrev_b32_e32 v0, 2, v0
	v_and_b32_e32 v5, 15, v1
	v_mov_b32_e32 v1, 0
	s_delay_alu instid0(VALU_DEP_3) | instskip(NEXT) | instid1(VALU_DEP_3)
	v_lshl_or_b32 v0, s15, 9, v0
	v_lshlrev_b32_e32 v4, 4, v5
	s_delay_alu instid0(VALU_DEP_1) | instskip(SKIP_1) | instid1(VALU_DEP_2)
	v_and_or_b32 v6, 0x700, v3, v4
	v_dual_mov_b32 v3, 2 :: v_dual_mov_b32 v4, 3
	v_mad_i32_i24 v5, v5, -12, v6
	ds_store_b128 v6, v[1:4]
	; wave barrier
	ds_load_2addr_b32 v[2:3], v5 offset1:16
	ds_load_2addr_b32 v[4:5], v5 offset0:32 offset1:48
	v_lshlrev_b64 v[0:1], 2, v[0:1]
	s_waitcnt lgkmcnt(0)
	s_delay_alu instid0(VALU_DEP_1) | instskip(NEXT) | instid1(VALU_DEP_2)
	v_add_co_u32 v0, vcc_lo, s0, v0
	v_add_co_ci_u32_e32 v1, vcc_lo, s1, v1, vcc_lo
	global_store_b128 v[0:1], v[2:5], off
	s_nop 0
	s_sendmsg sendmsg(MSG_DEALLOC_VGPRS)
	s_endpgm
	.section	.rodata,"a",@progbits
	.p2align	6, 0x0
	.amdhsa_kernel _Z20warp_exchange_kernelILj128ELj4ELj16ELN6hipcub21WarpExchangeAlgorithmE0E18BlockedToStripedOpiEvPT4_
		.amdhsa_group_segment_fixed_size 2048
		.amdhsa_private_segment_fixed_size 0
		.amdhsa_kernarg_size 8
		.amdhsa_user_sgpr_count 15
		.amdhsa_user_sgpr_dispatch_ptr 0
		.amdhsa_user_sgpr_queue_ptr 0
		.amdhsa_user_sgpr_kernarg_segment_ptr 1
		.amdhsa_user_sgpr_dispatch_id 0
		.amdhsa_user_sgpr_private_segment_size 0
		.amdhsa_wavefront_size32 1
		.amdhsa_uses_dynamic_stack 0
		.amdhsa_enable_private_segment 0
		.amdhsa_system_sgpr_workgroup_id_x 1
		.amdhsa_system_sgpr_workgroup_id_y 0
		.amdhsa_system_sgpr_workgroup_id_z 0
		.amdhsa_system_sgpr_workgroup_info 0
		.amdhsa_system_vgpr_workitem_id 0
		.amdhsa_next_free_vgpr 7
		.amdhsa_next_free_sgpr 16
		.amdhsa_reserve_vcc 1
		.amdhsa_float_round_mode_32 0
		.amdhsa_float_round_mode_16_64 0
		.amdhsa_float_denorm_mode_32 3
		.amdhsa_float_denorm_mode_16_64 3
		.amdhsa_dx10_clamp 1
		.amdhsa_ieee_mode 1
		.amdhsa_fp16_overflow 0
		.amdhsa_workgroup_processor_mode 1
		.amdhsa_memory_ordered 1
		.amdhsa_forward_progress 0
		.amdhsa_shared_vgpr_count 0
		.amdhsa_exception_fp_ieee_invalid_op 0
		.amdhsa_exception_fp_denorm_src 0
		.amdhsa_exception_fp_ieee_div_zero 0
		.amdhsa_exception_fp_ieee_overflow 0
		.amdhsa_exception_fp_ieee_underflow 0
		.amdhsa_exception_fp_ieee_inexact 0
		.amdhsa_exception_int_div_zero 0
	.end_amdhsa_kernel
	.section	.text._Z20warp_exchange_kernelILj128ELj4ELj16ELN6hipcub21WarpExchangeAlgorithmE0E18BlockedToStripedOpiEvPT4_,"axG",@progbits,_Z20warp_exchange_kernelILj128ELj4ELj16ELN6hipcub21WarpExchangeAlgorithmE0E18BlockedToStripedOpiEvPT4_,comdat
.Lfunc_end1:
	.size	_Z20warp_exchange_kernelILj128ELj4ELj16ELN6hipcub21WarpExchangeAlgorithmE0E18BlockedToStripedOpiEvPT4_, .Lfunc_end1-_Z20warp_exchange_kernelILj128ELj4ELj16ELN6hipcub21WarpExchangeAlgorithmE0E18BlockedToStripedOpiEvPT4_
                                        ; -- End function
	.section	.AMDGPU.csdata,"",@progbits
; Kernel info:
; codeLenInByte = 156
; NumSgprs: 18
; NumVgprs: 7
; ScratchSize: 0
; MemoryBound: 0
; FloatMode: 240
; IeeeMode: 1
; LDSByteSize: 2048 bytes/workgroup (compile time only)
; SGPRBlocks: 2
; VGPRBlocks: 0
; NumSGPRsForWavesPerEU: 18
; NumVGPRsForWavesPerEU: 7
; Occupancy: 16
; WaveLimiterHint : 0
; COMPUTE_PGM_RSRC2:SCRATCH_EN: 0
; COMPUTE_PGM_RSRC2:USER_SGPR: 15
; COMPUTE_PGM_RSRC2:TRAP_HANDLER: 0
; COMPUTE_PGM_RSRC2:TGID_X_EN: 1
; COMPUTE_PGM_RSRC2:TGID_Y_EN: 0
; COMPUTE_PGM_RSRC2:TGID_Z_EN: 0
; COMPUTE_PGM_RSRC2:TIDIG_COMP_CNT: 0
	.section	.text._Z20warp_exchange_kernelILj128ELj16ELj16ELN6hipcub21WarpExchangeAlgorithmE0E18StripedToBlockedOpiEvPT4_,"axG",@progbits,_Z20warp_exchange_kernelILj128ELj16ELj16ELN6hipcub21WarpExchangeAlgorithmE0E18StripedToBlockedOpiEvPT4_,comdat
	.protected	_Z20warp_exchange_kernelILj128ELj16ELj16ELN6hipcub21WarpExchangeAlgorithmE0E18StripedToBlockedOpiEvPT4_ ; -- Begin function _Z20warp_exchange_kernelILj128ELj16ELj16ELN6hipcub21WarpExchangeAlgorithmE0E18StripedToBlockedOpiEvPT4_
	.globl	_Z20warp_exchange_kernelILj128ELj16ELj16ELN6hipcub21WarpExchangeAlgorithmE0E18StripedToBlockedOpiEvPT4_
	.p2align	8
	.type	_Z20warp_exchange_kernelILj128ELj16ELj16ELN6hipcub21WarpExchangeAlgorithmE0E18StripedToBlockedOpiEvPT4_,@function
_Z20warp_exchange_kernelILj128ELj16ELj16ELN6hipcub21WarpExchangeAlgorithmE0E18StripedToBlockedOpiEvPT4_: ; @_Z20warp_exchange_kernelILj128ELj16ELj16ELN6hipcub21WarpExchangeAlgorithmE0E18StripedToBlockedOpiEvPT4_
; %bb.0:
	v_mbcnt_lo_u32_b32 v1, -1, 0
	v_dual_mov_b32 v6, 2 :: v_dual_lshlrev_b32 v3, 6, v0
	v_mov_b32_e32 v7, 1
	v_dual_mov_b32 v5, 15 :: v_dual_mov_b32 v8, 3
	s_delay_alu instid0(VALU_DEP_4) | instskip(SKIP_2) | instid1(VALU_DEP_3)
	v_dual_mov_b32 v2, 6 :: v_dual_and_b32 v1, 15, v1
	v_mov_b32_e32 v17, 0
	v_dual_mov_b32 v9, 5 :: v_dual_mov_b32 v10, 7
	v_lshlrev_b32_e32 v4, 2, v1
	s_load_b64 s[0:1], s[0:1], 0x0
	v_mov_b32_e32 v11, 13
	s_delay_alu instid0(VALU_DEP_2)
	v_and_or_b32 v3, 0x1c00, v3, v4
	v_mov_b32_e32 v4, 4
	ds_store_2addr_b32 v3, v17, v7 offset1:16
	ds_store_2addr_b32 v3, v6, v8 offset0:32 offset1:48
	ds_store_2addr_b32 v3, v4, v9 offset0:64 offset1:80
	v_dual_mov_b32 v4, 8 :: v_dual_mov_b32 v7, 10
	v_dual_mov_b32 v6, 9 :: v_dual_mov_b32 v9, 12
	v_mov_b32_e32 v8, 11
	ds_store_2addr_b32 v3, v2, v10 offset0:96 offset1:112
	v_mov_b32_e32 v2, 14
	ds_store_2addr_b32 v3, v4, v6 offset0:128 offset1:144
	ds_store_2addr_b32 v3, v7, v8 offset0:160 offset1:176
	;; [unrolled: 1-line block ×3, first 2 shown]
	v_mad_u32_u24 v12, v1, 60, v3
	v_lshlrev_b32_e32 v8, 4, v0
	ds_store_2addr_b32 v3, v2, v5 offset0:224 offset1:240
	; wave barrier
	ds_load_b128 v[0:3], v12
	ds_load_b128 v[4:7], v12 offset:16
	v_lshl_or_b32 v16, s15, 11, v8
	ds_load_b128 v[8:11], v12 offset:32
	ds_load_b128 v[12:15], v12 offset:48
	v_lshlrev_b64 v[16:17], 2, v[16:17]
	s_waitcnt lgkmcnt(0)
	s_delay_alu instid0(VALU_DEP_1) | instskip(NEXT) | instid1(VALU_DEP_2)
	v_add_co_u32 v16, vcc_lo, s0, v16
	v_add_co_ci_u32_e32 v17, vcc_lo, s1, v17, vcc_lo
	s_clause 0x3
	global_store_b128 v[16:17], v[0:3], off
	global_store_b128 v[16:17], v[4:7], off offset:16
	global_store_b128 v[16:17], v[8:11], off offset:32
	;; [unrolled: 1-line block ×3, first 2 shown]
	s_nop 0
	s_sendmsg sendmsg(MSG_DEALLOC_VGPRS)
	s_endpgm
	.section	.rodata,"a",@progbits
	.p2align	6, 0x0
	.amdhsa_kernel _Z20warp_exchange_kernelILj128ELj16ELj16ELN6hipcub21WarpExchangeAlgorithmE0E18StripedToBlockedOpiEvPT4_
		.amdhsa_group_segment_fixed_size 8192
		.amdhsa_private_segment_fixed_size 0
		.amdhsa_kernarg_size 8
		.amdhsa_user_sgpr_count 15
		.amdhsa_user_sgpr_dispatch_ptr 0
		.amdhsa_user_sgpr_queue_ptr 0
		.amdhsa_user_sgpr_kernarg_segment_ptr 1
		.amdhsa_user_sgpr_dispatch_id 0
		.amdhsa_user_sgpr_private_segment_size 0
		.amdhsa_wavefront_size32 1
		.amdhsa_uses_dynamic_stack 0
		.amdhsa_enable_private_segment 0
		.amdhsa_system_sgpr_workgroup_id_x 1
		.amdhsa_system_sgpr_workgroup_id_y 0
		.amdhsa_system_sgpr_workgroup_id_z 0
		.amdhsa_system_sgpr_workgroup_info 0
		.amdhsa_system_vgpr_workitem_id 0
		.amdhsa_next_free_vgpr 18
		.amdhsa_next_free_sgpr 16
		.amdhsa_reserve_vcc 1
		.amdhsa_float_round_mode_32 0
		.amdhsa_float_round_mode_16_64 0
		.amdhsa_float_denorm_mode_32 3
		.amdhsa_float_denorm_mode_16_64 3
		.amdhsa_dx10_clamp 1
		.amdhsa_ieee_mode 1
		.amdhsa_fp16_overflow 0
		.amdhsa_workgroup_processor_mode 1
		.amdhsa_memory_ordered 1
		.amdhsa_forward_progress 0
		.amdhsa_shared_vgpr_count 0
		.amdhsa_exception_fp_ieee_invalid_op 0
		.amdhsa_exception_fp_denorm_src 0
		.amdhsa_exception_fp_ieee_div_zero 0
		.amdhsa_exception_fp_ieee_overflow 0
		.amdhsa_exception_fp_ieee_underflow 0
		.amdhsa_exception_fp_ieee_inexact 0
		.amdhsa_exception_int_div_zero 0
	.end_amdhsa_kernel
	.section	.text._Z20warp_exchange_kernelILj128ELj16ELj16ELN6hipcub21WarpExchangeAlgorithmE0E18StripedToBlockedOpiEvPT4_,"axG",@progbits,_Z20warp_exchange_kernelILj128ELj16ELj16ELN6hipcub21WarpExchangeAlgorithmE0E18StripedToBlockedOpiEvPT4_,comdat
.Lfunc_end2:
	.size	_Z20warp_exchange_kernelILj128ELj16ELj16ELN6hipcub21WarpExchangeAlgorithmE0E18StripedToBlockedOpiEvPT4_, .Lfunc_end2-_Z20warp_exchange_kernelILj128ELj16ELj16ELN6hipcub21WarpExchangeAlgorithmE0E18StripedToBlockedOpiEvPT4_
                                        ; -- End function
	.section	.AMDGPU.csdata,"",@progbits
; Kernel info:
; codeLenInByte = 304
; NumSgprs: 18
; NumVgprs: 18
; ScratchSize: 0
; MemoryBound: 0
; FloatMode: 240
; IeeeMode: 1
; LDSByteSize: 8192 bytes/workgroup (compile time only)
; SGPRBlocks: 2
; VGPRBlocks: 2
; NumSGPRsForWavesPerEU: 18
; NumVGPRsForWavesPerEU: 18
; Occupancy: 16
; WaveLimiterHint : 0
; COMPUTE_PGM_RSRC2:SCRATCH_EN: 0
; COMPUTE_PGM_RSRC2:USER_SGPR: 15
; COMPUTE_PGM_RSRC2:TRAP_HANDLER: 0
; COMPUTE_PGM_RSRC2:TGID_X_EN: 1
; COMPUTE_PGM_RSRC2:TGID_Y_EN: 0
; COMPUTE_PGM_RSRC2:TGID_Z_EN: 0
; COMPUTE_PGM_RSRC2:TIDIG_COMP_CNT: 0
	.section	.text._Z20warp_exchange_kernelILj128ELj16ELj16ELN6hipcub21WarpExchangeAlgorithmE0E18BlockedToStripedOpiEvPT4_,"axG",@progbits,_Z20warp_exchange_kernelILj128ELj16ELj16ELN6hipcub21WarpExchangeAlgorithmE0E18BlockedToStripedOpiEvPT4_,comdat
	.protected	_Z20warp_exchange_kernelILj128ELj16ELj16ELN6hipcub21WarpExchangeAlgorithmE0E18BlockedToStripedOpiEvPT4_ ; -- Begin function _Z20warp_exchange_kernelILj128ELj16ELj16ELN6hipcub21WarpExchangeAlgorithmE0E18BlockedToStripedOpiEvPT4_
	.globl	_Z20warp_exchange_kernelILj128ELj16ELj16ELN6hipcub21WarpExchangeAlgorithmE0E18BlockedToStripedOpiEvPT4_
	.p2align	8
	.type	_Z20warp_exchange_kernelILj128ELj16ELj16ELN6hipcub21WarpExchangeAlgorithmE0E18BlockedToStripedOpiEvPT4_,@function
_Z20warp_exchange_kernelILj128ELj16ELj16ELN6hipcub21WarpExchangeAlgorithmE0E18BlockedToStripedOpiEvPT4_: ; @_Z20warp_exchange_kernelILj128ELj16ELj16ELN6hipcub21WarpExchangeAlgorithmE0E18BlockedToStripedOpiEvPT4_
; %bb.0:
	v_mbcnt_lo_u32_b32 v2, -1, 0
	v_dual_mov_b32 v3, 2 :: v_dual_lshlrev_b32 v8, 6, v0
	s_load_b64 s[0:1], s[0:1], 0x0
	v_mov_b32_e32 v1, 0
	s_delay_alu instid0(VALU_DEP_3) | instskip(SKIP_1) | instid1(VALU_DEP_2)
	v_dual_mov_b32 v4, 3 :: v_dual_and_b32 v17, 15, v2
	v_dual_mov_b32 v2, 1 :: v_dual_mov_b32 v7, 6
	v_dual_mov_b32 v10, 9 :: v_dual_lshlrev_b32 v9, 6, v17
	v_dual_mov_b32 v6, 5 :: v_dual_mov_b32 v11, 10
	v_dual_mov_b32 v14, 13 :: v_dual_mov_b32 v5, 4
	s_delay_alu instid0(VALU_DEP_3) | instskip(SKIP_3) | instid1(VALU_DEP_4)
	v_and_or_b32 v18, 0x1c00, v8, v9
	v_dual_mov_b32 v8, 7 :: v_dual_mov_b32 v9, 8
	v_dual_mov_b32 v12, 11 :: v_dual_mov_b32 v13, 12
	v_mov_b32_e32 v16, 15
	v_mad_i32_i24 v17, 0xffffffc4, v17, v18
	v_dual_mov_b32 v15, 14 :: v_dual_lshlrev_b32 v0, 4, v0
	ds_store_b128 v18, v[1:4]
	ds_store_b128 v18, v[5:8] offset:16
	ds_store_b128 v18, v[9:12] offset:32
	;; [unrolled: 1-line block ×3, first 2 shown]
	; wave barrier
	ds_load_2addr_b32 v[2:3], v17 offset1:16
	ds_load_2addr_b32 v[4:5], v17 offset0:32 offset1:48
	ds_load_2addr_b32 v[6:7], v17 offset0:64 offset1:80
	ds_load_2addr_b32 v[8:9], v17 offset0:96 offset1:112
	ds_load_2addr_b32 v[10:11], v17 offset0:128 offset1:144
	ds_load_2addr_b32 v[12:13], v17 offset0:160 offset1:176
	ds_load_2addr_b32 v[14:15], v17 offset0:192 offset1:208
	v_lshl_or_b32 v0, s15, 11, v0
	ds_load_2addr_b32 v[16:17], v17 offset0:224 offset1:240
	v_lshlrev_b64 v[0:1], 2, v[0:1]
	s_waitcnt lgkmcnt(0)
	s_delay_alu instid0(VALU_DEP_1) | instskip(NEXT) | instid1(VALU_DEP_2)
	v_add_co_u32 v0, vcc_lo, s0, v0
	v_add_co_ci_u32_e32 v1, vcc_lo, s1, v1, vcc_lo
	s_clause 0x3
	global_store_b128 v[0:1], v[2:5], off
	global_store_b128 v[0:1], v[6:9], off offset:16
	global_store_b128 v[0:1], v[10:13], off offset:32
	;; [unrolled: 1-line block ×3, first 2 shown]
	s_nop 0
	s_sendmsg sendmsg(MSG_DEALLOC_VGPRS)
	s_endpgm
	.section	.rodata,"a",@progbits
	.p2align	6, 0x0
	.amdhsa_kernel _Z20warp_exchange_kernelILj128ELj16ELj16ELN6hipcub21WarpExchangeAlgorithmE0E18BlockedToStripedOpiEvPT4_
		.amdhsa_group_segment_fixed_size 8192
		.amdhsa_private_segment_fixed_size 0
		.amdhsa_kernarg_size 8
		.amdhsa_user_sgpr_count 15
		.amdhsa_user_sgpr_dispatch_ptr 0
		.amdhsa_user_sgpr_queue_ptr 0
		.amdhsa_user_sgpr_kernarg_segment_ptr 1
		.amdhsa_user_sgpr_dispatch_id 0
		.amdhsa_user_sgpr_private_segment_size 0
		.amdhsa_wavefront_size32 1
		.amdhsa_uses_dynamic_stack 0
		.amdhsa_enable_private_segment 0
		.amdhsa_system_sgpr_workgroup_id_x 1
		.amdhsa_system_sgpr_workgroup_id_y 0
		.amdhsa_system_sgpr_workgroup_id_z 0
		.amdhsa_system_sgpr_workgroup_info 0
		.amdhsa_system_vgpr_workitem_id 0
		.amdhsa_next_free_vgpr 19
		.amdhsa_next_free_sgpr 16
		.amdhsa_reserve_vcc 1
		.amdhsa_float_round_mode_32 0
		.amdhsa_float_round_mode_16_64 0
		.amdhsa_float_denorm_mode_32 3
		.amdhsa_float_denorm_mode_16_64 3
		.amdhsa_dx10_clamp 1
		.amdhsa_ieee_mode 1
		.amdhsa_fp16_overflow 0
		.amdhsa_workgroup_processor_mode 1
		.amdhsa_memory_ordered 1
		.amdhsa_forward_progress 0
		.amdhsa_shared_vgpr_count 0
		.amdhsa_exception_fp_ieee_invalid_op 0
		.amdhsa_exception_fp_denorm_src 0
		.amdhsa_exception_fp_ieee_div_zero 0
		.amdhsa_exception_fp_ieee_overflow 0
		.amdhsa_exception_fp_ieee_underflow 0
		.amdhsa_exception_fp_ieee_inexact 0
		.amdhsa_exception_int_div_zero 0
	.end_amdhsa_kernel
	.section	.text._Z20warp_exchange_kernelILj128ELj16ELj16ELN6hipcub21WarpExchangeAlgorithmE0E18BlockedToStripedOpiEvPT4_,"axG",@progbits,_Z20warp_exchange_kernelILj128ELj16ELj16ELN6hipcub21WarpExchangeAlgorithmE0E18BlockedToStripedOpiEvPT4_,comdat
.Lfunc_end3:
	.size	_Z20warp_exchange_kernelILj128ELj16ELj16ELN6hipcub21WarpExchangeAlgorithmE0E18BlockedToStripedOpiEvPT4_, .Lfunc_end3-_Z20warp_exchange_kernelILj128ELj16ELj16ELN6hipcub21WarpExchangeAlgorithmE0E18BlockedToStripedOpiEvPT4_
                                        ; -- End function
	.section	.AMDGPU.csdata,"",@progbits
; Kernel info:
; codeLenInByte = 308
; NumSgprs: 18
; NumVgprs: 19
; ScratchSize: 0
; MemoryBound: 1
; FloatMode: 240
; IeeeMode: 1
; LDSByteSize: 8192 bytes/workgroup (compile time only)
; SGPRBlocks: 2
; VGPRBlocks: 2
; NumSGPRsForWavesPerEU: 18
; NumVGPRsForWavesPerEU: 19
; Occupancy: 16
; WaveLimiterHint : 1
; COMPUTE_PGM_RSRC2:SCRATCH_EN: 0
; COMPUTE_PGM_RSRC2:USER_SGPR: 15
; COMPUTE_PGM_RSRC2:TRAP_HANDLER: 0
; COMPUTE_PGM_RSRC2:TGID_X_EN: 1
; COMPUTE_PGM_RSRC2:TGID_Y_EN: 0
; COMPUTE_PGM_RSRC2:TGID_Z_EN: 0
; COMPUTE_PGM_RSRC2:TIDIG_COMP_CNT: 0
	.section	.text._Z20warp_exchange_kernelILj128ELj4ELj32ELN6hipcub21WarpExchangeAlgorithmE0E18StripedToBlockedOpiEvPT4_,"axG",@progbits,_Z20warp_exchange_kernelILj128ELj4ELj32ELN6hipcub21WarpExchangeAlgorithmE0E18StripedToBlockedOpiEvPT4_,comdat
	.protected	_Z20warp_exchange_kernelILj128ELj4ELj32ELN6hipcub21WarpExchangeAlgorithmE0E18StripedToBlockedOpiEvPT4_ ; -- Begin function _Z20warp_exchange_kernelILj128ELj4ELj32ELN6hipcub21WarpExchangeAlgorithmE0E18StripedToBlockedOpiEvPT4_
	.globl	_Z20warp_exchange_kernelILj128ELj4ELj32ELN6hipcub21WarpExchangeAlgorithmE0E18StripedToBlockedOpiEvPT4_
	.p2align	8
	.type	_Z20warp_exchange_kernelILj128ELj4ELj32ELN6hipcub21WarpExchangeAlgorithmE0E18StripedToBlockedOpiEvPT4_,@function
_Z20warp_exchange_kernelILj128ELj4ELj32ELN6hipcub21WarpExchangeAlgorithmE0E18StripedToBlockedOpiEvPT4_: ; @_Z20warp_exchange_kernelILj128ELj4ELj32ELN6hipcub21WarpExchangeAlgorithmE0E18StripedToBlockedOpiEvPT4_
; %bb.0:
	v_dual_mov_b32 v4, 1 :: v_dual_lshlrev_b32 v1, 4, v0
	v_mbcnt_lo_u32_b32 v2, -1, 0
	s_load_b64 s[0:1], s[0:1], 0x0
	v_dual_mov_b32 v5, 0 :: v_dual_lshlrev_b32 v8, 2, v0
	s_delay_alu instid0(VALU_DEP_3) | instskip(SKIP_2) | instid1(VALU_DEP_3)
	v_and_b32_e32 v1, 0x600, v1
	v_mov_b32_e32 v3, 2
	v_mov_b32_e32 v7, 3
	v_lshl_or_b32 v6, v2, 2, v1
	v_lshl_or_b32 v0, v2, 4, v1
	ds_store_2addr_b32 v6, v5, v4 offset1:32
	ds_store_2addr_b32 v6, v3, v7 offset0:64 offset1:96
	; wave barrier
	ds_load_b128 v[0:3], v0
	v_lshl_or_b32 v4, s15, 9, v8
	s_delay_alu instid0(VALU_DEP_1) | instskip(SKIP_1) | instid1(VALU_DEP_1)
	v_lshlrev_b64 v[4:5], 2, v[4:5]
	s_waitcnt lgkmcnt(0)
	v_add_co_u32 v4, vcc_lo, s0, v4
	s_delay_alu instid0(VALU_DEP_2)
	v_add_co_ci_u32_e32 v5, vcc_lo, s1, v5, vcc_lo
	global_store_b128 v[4:5], v[0:3], off
	s_nop 0
	s_sendmsg sendmsg(MSG_DEALLOC_VGPRS)
	s_endpgm
	.section	.rodata,"a",@progbits
	.p2align	6, 0x0
	.amdhsa_kernel _Z20warp_exchange_kernelILj128ELj4ELj32ELN6hipcub21WarpExchangeAlgorithmE0E18StripedToBlockedOpiEvPT4_
		.amdhsa_group_segment_fixed_size 2048
		.amdhsa_private_segment_fixed_size 0
		.amdhsa_kernarg_size 8
		.amdhsa_user_sgpr_count 15
		.amdhsa_user_sgpr_dispatch_ptr 0
		.amdhsa_user_sgpr_queue_ptr 0
		.amdhsa_user_sgpr_kernarg_segment_ptr 1
		.amdhsa_user_sgpr_dispatch_id 0
		.amdhsa_user_sgpr_private_segment_size 0
		.amdhsa_wavefront_size32 1
		.amdhsa_uses_dynamic_stack 0
		.amdhsa_enable_private_segment 0
		.amdhsa_system_sgpr_workgroup_id_x 1
		.amdhsa_system_sgpr_workgroup_id_y 0
		.amdhsa_system_sgpr_workgroup_id_z 0
		.amdhsa_system_sgpr_workgroup_info 0
		.amdhsa_system_vgpr_workitem_id 0
		.amdhsa_next_free_vgpr 9
		.amdhsa_next_free_sgpr 16
		.amdhsa_reserve_vcc 1
		.amdhsa_float_round_mode_32 0
		.amdhsa_float_round_mode_16_64 0
		.amdhsa_float_denorm_mode_32 3
		.amdhsa_float_denorm_mode_16_64 3
		.amdhsa_dx10_clamp 1
		.amdhsa_ieee_mode 1
		.amdhsa_fp16_overflow 0
		.amdhsa_workgroup_processor_mode 1
		.amdhsa_memory_ordered 1
		.amdhsa_forward_progress 0
		.amdhsa_shared_vgpr_count 0
		.amdhsa_exception_fp_ieee_invalid_op 0
		.amdhsa_exception_fp_denorm_src 0
		.amdhsa_exception_fp_ieee_div_zero 0
		.amdhsa_exception_fp_ieee_overflow 0
		.amdhsa_exception_fp_ieee_underflow 0
		.amdhsa_exception_fp_ieee_inexact 0
		.amdhsa_exception_int_div_zero 0
	.end_amdhsa_kernel
	.section	.text._Z20warp_exchange_kernelILj128ELj4ELj32ELN6hipcub21WarpExchangeAlgorithmE0E18StripedToBlockedOpiEvPT4_,"axG",@progbits,_Z20warp_exchange_kernelILj128ELj4ELj32ELN6hipcub21WarpExchangeAlgorithmE0E18StripedToBlockedOpiEvPT4_,comdat
.Lfunc_end4:
	.size	_Z20warp_exchange_kernelILj128ELj4ELj32ELN6hipcub21WarpExchangeAlgorithmE0E18StripedToBlockedOpiEvPT4_, .Lfunc_end4-_Z20warp_exchange_kernelILj128ELj4ELj32ELN6hipcub21WarpExchangeAlgorithmE0E18StripedToBlockedOpiEvPT4_
                                        ; -- End function
	.section	.AMDGPU.csdata,"",@progbits
; Kernel info:
; codeLenInByte = 152
; NumSgprs: 18
; NumVgprs: 9
; ScratchSize: 0
; MemoryBound: 0
; FloatMode: 240
; IeeeMode: 1
; LDSByteSize: 2048 bytes/workgroup (compile time only)
; SGPRBlocks: 2
; VGPRBlocks: 1
; NumSGPRsForWavesPerEU: 18
; NumVGPRsForWavesPerEU: 9
; Occupancy: 16
; WaveLimiterHint : 0
; COMPUTE_PGM_RSRC2:SCRATCH_EN: 0
; COMPUTE_PGM_RSRC2:USER_SGPR: 15
; COMPUTE_PGM_RSRC2:TRAP_HANDLER: 0
; COMPUTE_PGM_RSRC2:TGID_X_EN: 1
; COMPUTE_PGM_RSRC2:TGID_Y_EN: 0
; COMPUTE_PGM_RSRC2:TGID_Z_EN: 0
; COMPUTE_PGM_RSRC2:TIDIG_COMP_CNT: 0
	.section	.text._Z20warp_exchange_kernelILj128ELj4ELj32ELN6hipcub21WarpExchangeAlgorithmE0E18BlockedToStripedOpiEvPT4_,"axG",@progbits,_Z20warp_exchange_kernelILj128ELj4ELj32ELN6hipcub21WarpExchangeAlgorithmE0E18BlockedToStripedOpiEvPT4_,comdat
	.protected	_Z20warp_exchange_kernelILj128ELj4ELj32ELN6hipcub21WarpExchangeAlgorithmE0E18BlockedToStripedOpiEvPT4_ ; -- Begin function _Z20warp_exchange_kernelILj128ELj4ELj32ELN6hipcub21WarpExchangeAlgorithmE0E18BlockedToStripedOpiEvPT4_
	.globl	_Z20warp_exchange_kernelILj128ELj4ELj32ELN6hipcub21WarpExchangeAlgorithmE0E18BlockedToStripedOpiEvPT4_
	.p2align	8
	.type	_Z20warp_exchange_kernelILj128ELj4ELj32ELN6hipcub21WarpExchangeAlgorithmE0E18BlockedToStripedOpiEvPT4_,@function
_Z20warp_exchange_kernelILj128ELj4ELj32ELN6hipcub21WarpExchangeAlgorithmE0E18BlockedToStripedOpiEvPT4_: ; @_Z20warp_exchange_kernelILj128ELj4ELj32ELN6hipcub21WarpExchangeAlgorithmE0E18BlockedToStripedOpiEvPT4_
; %bb.0:
	v_dual_mov_b32 v2, 1 :: v_dual_lshlrev_b32 v1, 4, v0
	v_mbcnt_lo_u32_b32 v5, -1, 0
	s_load_b64 s[0:1], s[0:1], 0x0
	v_dual_mov_b32 v3, 2 :: v_dual_mov_b32 v4, 3
	s_delay_alu instid0(VALU_DEP_3) | instskip(SKIP_1) | instid1(VALU_DEP_2)
	v_dual_mov_b32 v1, 0 :: v_dual_and_b32 v6, 0x600, v1
	v_lshlrev_b32_e32 v0, 2, v0
	v_lshl_or_b32 v7, v5, 4, v6
	v_lshl_or_b32 v5, v5, 2, v6
	s_delay_alu instid0(VALU_DEP_3)
	v_lshl_or_b32 v0, s15, 9, v0
	ds_store_b128 v7, v[1:4]
	; wave barrier
	ds_load_2addr_b32 v[2:3], v5 offset1:32
	ds_load_2addr_b32 v[4:5], v5 offset0:64 offset1:96
	v_lshlrev_b64 v[0:1], 2, v[0:1]
	s_waitcnt lgkmcnt(0)
	s_delay_alu instid0(VALU_DEP_1) | instskip(NEXT) | instid1(VALU_DEP_2)
	v_add_co_u32 v0, vcc_lo, s0, v0
	v_add_co_ci_u32_e32 v1, vcc_lo, s1, v1, vcc_lo
	global_store_b128 v[0:1], v[2:5], off
	s_nop 0
	s_sendmsg sendmsg(MSG_DEALLOC_VGPRS)
	s_endpgm
	.section	.rodata,"a",@progbits
	.p2align	6, 0x0
	.amdhsa_kernel _Z20warp_exchange_kernelILj128ELj4ELj32ELN6hipcub21WarpExchangeAlgorithmE0E18BlockedToStripedOpiEvPT4_
		.amdhsa_group_segment_fixed_size 2048
		.amdhsa_private_segment_fixed_size 0
		.amdhsa_kernarg_size 8
		.amdhsa_user_sgpr_count 15
		.amdhsa_user_sgpr_dispatch_ptr 0
		.amdhsa_user_sgpr_queue_ptr 0
		.amdhsa_user_sgpr_kernarg_segment_ptr 1
		.amdhsa_user_sgpr_dispatch_id 0
		.amdhsa_user_sgpr_private_segment_size 0
		.amdhsa_wavefront_size32 1
		.amdhsa_uses_dynamic_stack 0
		.amdhsa_enable_private_segment 0
		.amdhsa_system_sgpr_workgroup_id_x 1
		.amdhsa_system_sgpr_workgroup_id_y 0
		.amdhsa_system_sgpr_workgroup_id_z 0
		.amdhsa_system_sgpr_workgroup_info 0
		.amdhsa_system_vgpr_workitem_id 0
		.amdhsa_next_free_vgpr 8
		.amdhsa_next_free_sgpr 16
		.amdhsa_reserve_vcc 1
		.amdhsa_float_round_mode_32 0
		.amdhsa_float_round_mode_16_64 0
		.amdhsa_float_denorm_mode_32 3
		.amdhsa_float_denorm_mode_16_64 3
		.amdhsa_dx10_clamp 1
		.amdhsa_ieee_mode 1
		.amdhsa_fp16_overflow 0
		.amdhsa_workgroup_processor_mode 1
		.amdhsa_memory_ordered 1
		.amdhsa_forward_progress 0
		.amdhsa_shared_vgpr_count 0
		.amdhsa_exception_fp_ieee_invalid_op 0
		.amdhsa_exception_fp_denorm_src 0
		.amdhsa_exception_fp_ieee_div_zero 0
		.amdhsa_exception_fp_ieee_overflow 0
		.amdhsa_exception_fp_ieee_underflow 0
		.amdhsa_exception_fp_ieee_inexact 0
		.amdhsa_exception_int_div_zero 0
	.end_amdhsa_kernel
	.section	.text._Z20warp_exchange_kernelILj128ELj4ELj32ELN6hipcub21WarpExchangeAlgorithmE0E18BlockedToStripedOpiEvPT4_,"axG",@progbits,_Z20warp_exchange_kernelILj128ELj4ELj32ELN6hipcub21WarpExchangeAlgorithmE0E18BlockedToStripedOpiEvPT4_,comdat
.Lfunc_end5:
	.size	_Z20warp_exchange_kernelILj128ELj4ELj32ELN6hipcub21WarpExchangeAlgorithmE0E18BlockedToStripedOpiEvPT4_, .Lfunc_end5-_Z20warp_exchange_kernelILj128ELj4ELj32ELN6hipcub21WarpExchangeAlgorithmE0E18BlockedToStripedOpiEvPT4_
                                        ; -- End function
	.section	.AMDGPU.csdata,"",@progbits
; Kernel info:
; codeLenInByte = 152
; NumSgprs: 18
; NumVgprs: 8
; ScratchSize: 0
; MemoryBound: 0
; FloatMode: 240
; IeeeMode: 1
; LDSByteSize: 2048 bytes/workgroup (compile time only)
; SGPRBlocks: 2
; VGPRBlocks: 0
; NumSGPRsForWavesPerEU: 18
; NumVGPRsForWavesPerEU: 8
; Occupancy: 16
; WaveLimiterHint : 0
; COMPUTE_PGM_RSRC2:SCRATCH_EN: 0
; COMPUTE_PGM_RSRC2:USER_SGPR: 15
; COMPUTE_PGM_RSRC2:TRAP_HANDLER: 0
; COMPUTE_PGM_RSRC2:TGID_X_EN: 1
; COMPUTE_PGM_RSRC2:TGID_Y_EN: 0
; COMPUTE_PGM_RSRC2:TGID_Z_EN: 0
; COMPUTE_PGM_RSRC2:TIDIG_COMP_CNT: 0
	.section	.text._Z20warp_exchange_kernelILj256ELj4ELj32ELN6hipcub21WarpExchangeAlgorithmE0E18StripedToBlockedOpiEvPT4_,"axG",@progbits,_Z20warp_exchange_kernelILj256ELj4ELj32ELN6hipcub21WarpExchangeAlgorithmE0E18StripedToBlockedOpiEvPT4_,comdat
	.protected	_Z20warp_exchange_kernelILj256ELj4ELj32ELN6hipcub21WarpExchangeAlgorithmE0E18StripedToBlockedOpiEvPT4_ ; -- Begin function _Z20warp_exchange_kernelILj256ELj4ELj32ELN6hipcub21WarpExchangeAlgorithmE0E18StripedToBlockedOpiEvPT4_
	.globl	_Z20warp_exchange_kernelILj256ELj4ELj32ELN6hipcub21WarpExchangeAlgorithmE0E18StripedToBlockedOpiEvPT4_
	.p2align	8
	.type	_Z20warp_exchange_kernelILj256ELj4ELj32ELN6hipcub21WarpExchangeAlgorithmE0E18StripedToBlockedOpiEvPT4_,@function
_Z20warp_exchange_kernelILj256ELj4ELj32ELN6hipcub21WarpExchangeAlgorithmE0E18StripedToBlockedOpiEvPT4_: ; @_Z20warp_exchange_kernelILj256ELj4ELj32ELN6hipcub21WarpExchangeAlgorithmE0E18StripedToBlockedOpiEvPT4_
; %bb.0:
	v_dual_mov_b32 v4, 1 :: v_dual_lshlrev_b32 v1, 4, v0
	v_mbcnt_lo_u32_b32 v2, -1, 0
	s_load_b64 s[0:1], s[0:1], 0x0
	v_dual_mov_b32 v5, 0 :: v_dual_lshlrev_b32 v8, 2, v0
	s_delay_alu instid0(VALU_DEP_3) | instskip(SKIP_2) | instid1(VALU_DEP_3)
	v_and_b32_e32 v1, 0xe00, v1
	v_mov_b32_e32 v3, 2
	v_mov_b32_e32 v7, 3
	v_lshl_or_b32 v6, v2, 2, v1
	v_lshl_or_b32 v0, v2, 4, v1
	ds_store_2addr_b32 v6, v5, v4 offset1:32
	ds_store_2addr_b32 v6, v3, v7 offset0:64 offset1:96
	; wave barrier
	ds_load_b128 v[0:3], v0
	v_lshl_or_b32 v4, s15, 10, v8
	s_delay_alu instid0(VALU_DEP_1) | instskip(SKIP_1) | instid1(VALU_DEP_1)
	v_lshlrev_b64 v[4:5], 2, v[4:5]
	s_waitcnt lgkmcnt(0)
	v_add_co_u32 v4, vcc_lo, s0, v4
	s_delay_alu instid0(VALU_DEP_2)
	v_add_co_ci_u32_e32 v5, vcc_lo, s1, v5, vcc_lo
	global_store_b128 v[4:5], v[0:3], off
	s_nop 0
	s_sendmsg sendmsg(MSG_DEALLOC_VGPRS)
	s_endpgm
	.section	.rodata,"a",@progbits
	.p2align	6, 0x0
	.amdhsa_kernel _Z20warp_exchange_kernelILj256ELj4ELj32ELN6hipcub21WarpExchangeAlgorithmE0E18StripedToBlockedOpiEvPT4_
		.amdhsa_group_segment_fixed_size 4096
		.amdhsa_private_segment_fixed_size 0
		.amdhsa_kernarg_size 8
		.amdhsa_user_sgpr_count 15
		.amdhsa_user_sgpr_dispatch_ptr 0
		.amdhsa_user_sgpr_queue_ptr 0
		.amdhsa_user_sgpr_kernarg_segment_ptr 1
		.amdhsa_user_sgpr_dispatch_id 0
		.amdhsa_user_sgpr_private_segment_size 0
		.amdhsa_wavefront_size32 1
		.amdhsa_uses_dynamic_stack 0
		.amdhsa_enable_private_segment 0
		.amdhsa_system_sgpr_workgroup_id_x 1
		.amdhsa_system_sgpr_workgroup_id_y 0
		.amdhsa_system_sgpr_workgroup_id_z 0
		.amdhsa_system_sgpr_workgroup_info 0
		.amdhsa_system_vgpr_workitem_id 0
		.amdhsa_next_free_vgpr 9
		.amdhsa_next_free_sgpr 16
		.amdhsa_reserve_vcc 1
		.amdhsa_float_round_mode_32 0
		.amdhsa_float_round_mode_16_64 0
		.amdhsa_float_denorm_mode_32 3
		.amdhsa_float_denorm_mode_16_64 3
		.amdhsa_dx10_clamp 1
		.amdhsa_ieee_mode 1
		.amdhsa_fp16_overflow 0
		.amdhsa_workgroup_processor_mode 1
		.amdhsa_memory_ordered 1
		.amdhsa_forward_progress 0
		.amdhsa_shared_vgpr_count 0
		.amdhsa_exception_fp_ieee_invalid_op 0
		.amdhsa_exception_fp_denorm_src 0
		.amdhsa_exception_fp_ieee_div_zero 0
		.amdhsa_exception_fp_ieee_overflow 0
		.amdhsa_exception_fp_ieee_underflow 0
		.amdhsa_exception_fp_ieee_inexact 0
		.amdhsa_exception_int_div_zero 0
	.end_amdhsa_kernel
	.section	.text._Z20warp_exchange_kernelILj256ELj4ELj32ELN6hipcub21WarpExchangeAlgorithmE0E18StripedToBlockedOpiEvPT4_,"axG",@progbits,_Z20warp_exchange_kernelILj256ELj4ELj32ELN6hipcub21WarpExchangeAlgorithmE0E18StripedToBlockedOpiEvPT4_,comdat
.Lfunc_end6:
	.size	_Z20warp_exchange_kernelILj256ELj4ELj32ELN6hipcub21WarpExchangeAlgorithmE0E18StripedToBlockedOpiEvPT4_, .Lfunc_end6-_Z20warp_exchange_kernelILj256ELj4ELj32ELN6hipcub21WarpExchangeAlgorithmE0E18StripedToBlockedOpiEvPT4_
                                        ; -- End function
	.section	.AMDGPU.csdata,"",@progbits
; Kernel info:
; codeLenInByte = 152
; NumSgprs: 18
; NumVgprs: 9
; ScratchSize: 0
; MemoryBound: 0
; FloatMode: 240
; IeeeMode: 1
; LDSByteSize: 4096 bytes/workgroup (compile time only)
; SGPRBlocks: 2
; VGPRBlocks: 1
; NumSGPRsForWavesPerEU: 18
; NumVGPRsForWavesPerEU: 9
; Occupancy: 16
; WaveLimiterHint : 0
; COMPUTE_PGM_RSRC2:SCRATCH_EN: 0
; COMPUTE_PGM_RSRC2:USER_SGPR: 15
; COMPUTE_PGM_RSRC2:TRAP_HANDLER: 0
; COMPUTE_PGM_RSRC2:TGID_X_EN: 1
; COMPUTE_PGM_RSRC2:TGID_Y_EN: 0
; COMPUTE_PGM_RSRC2:TGID_Z_EN: 0
; COMPUTE_PGM_RSRC2:TIDIG_COMP_CNT: 0
	.section	.text._Z20warp_exchange_kernelILj256ELj4ELj32ELN6hipcub21WarpExchangeAlgorithmE0E18BlockedToStripedOpiEvPT4_,"axG",@progbits,_Z20warp_exchange_kernelILj256ELj4ELj32ELN6hipcub21WarpExchangeAlgorithmE0E18BlockedToStripedOpiEvPT4_,comdat
	.protected	_Z20warp_exchange_kernelILj256ELj4ELj32ELN6hipcub21WarpExchangeAlgorithmE0E18BlockedToStripedOpiEvPT4_ ; -- Begin function _Z20warp_exchange_kernelILj256ELj4ELj32ELN6hipcub21WarpExchangeAlgorithmE0E18BlockedToStripedOpiEvPT4_
	.globl	_Z20warp_exchange_kernelILj256ELj4ELj32ELN6hipcub21WarpExchangeAlgorithmE0E18BlockedToStripedOpiEvPT4_
	.p2align	8
	.type	_Z20warp_exchange_kernelILj256ELj4ELj32ELN6hipcub21WarpExchangeAlgorithmE0E18BlockedToStripedOpiEvPT4_,@function
_Z20warp_exchange_kernelILj256ELj4ELj32ELN6hipcub21WarpExchangeAlgorithmE0E18BlockedToStripedOpiEvPT4_: ; @_Z20warp_exchange_kernelILj256ELj4ELj32ELN6hipcub21WarpExchangeAlgorithmE0E18BlockedToStripedOpiEvPT4_
; %bb.0:
	v_dual_mov_b32 v2, 1 :: v_dual_lshlrev_b32 v1, 4, v0
	v_mbcnt_lo_u32_b32 v5, -1, 0
	s_load_b64 s[0:1], s[0:1], 0x0
	v_dual_mov_b32 v3, 2 :: v_dual_mov_b32 v4, 3
	s_delay_alu instid0(VALU_DEP_3) | instskip(SKIP_1) | instid1(VALU_DEP_2)
	v_dual_mov_b32 v1, 0 :: v_dual_and_b32 v6, 0xe00, v1
	v_lshlrev_b32_e32 v0, 2, v0
	v_lshl_or_b32 v7, v5, 4, v6
	v_lshl_or_b32 v5, v5, 2, v6
	s_delay_alu instid0(VALU_DEP_3)
	v_lshl_or_b32 v0, s15, 10, v0
	ds_store_b128 v7, v[1:4]
	; wave barrier
	ds_load_2addr_b32 v[2:3], v5 offset1:32
	ds_load_2addr_b32 v[4:5], v5 offset0:64 offset1:96
	v_lshlrev_b64 v[0:1], 2, v[0:1]
	s_waitcnt lgkmcnt(0)
	s_delay_alu instid0(VALU_DEP_1) | instskip(NEXT) | instid1(VALU_DEP_2)
	v_add_co_u32 v0, vcc_lo, s0, v0
	v_add_co_ci_u32_e32 v1, vcc_lo, s1, v1, vcc_lo
	global_store_b128 v[0:1], v[2:5], off
	s_nop 0
	s_sendmsg sendmsg(MSG_DEALLOC_VGPRS)
	s_endpgm
	.section	.rodata,"a",@progbits
	.p2align	6, 0x0
	.amdhsa_kernel _Z20warp_exchange_kernelILj256ELj4ELj32ELN6hipcub21WarpExchangeAlgorithmE0E18BlockedToStripedOpiEvPT4_
		.amdhsa_group_segment_fixed_size 4096
		.amdhsa_private_segment_fixed_size 0
		.amdhsa_kernarg_size 8
		.amdhsa_user_sgpr_count 15
		.amdhsa_user_sgpr_dispatch_ptr 0
		.amdhsa_user_sgpr_queue_ptr 0
		.amdhsa_user_sgpr_kernarg_segment_ptr 1
		.amdhsa_user_sgpr_dispatch_id 0
		.amdhsa_user_sgpr_private_segment_size 0
		.amdhsa_wavefront_size32 1
		.amdhsa_uses_dynamic_stack 0
		.amdhsa_enable_private_segment 0
		.amdhsa_system_sgpr_workgroup_id_x 1
		.amdhsa_system_sgpr_workgroup_id_y 0
		.amdhsa_system_sgpr_workgroup_id_z 0
		.amdhsa_system_sgpr_workgroup_info 0
		.amdhsa_system_vgpr_workitem_id 0
		.amdhsa_next_free_vgpr 8
		.amdhsa_next_free_sgpr 16
		.amdhsa_reserve_vcc 1
		.amdhsa_float_round_mode_32 0
		.amdhsa_float_round_mode_16_64 0
		.amdhsa_float_denorm_mode_32 3
		.amdhsa_float_denorm_mode_16_64 3
		.amdhsa_dx10_clamp 1
		.amdhsa_ieee_mode 1
		.amdhsa_fp16_overflow 0
		.amdhsa_workgroup_processor_mode 1
		.amdhsa_memory_ordered 1
		.amdhsa_forward_progress 0
		.amdhsa_shared_vgpr_count 0
		.amdhsa_exception_fp_ieee_invalid_op 0
		.amdhsa_exception_fp_denorm_src 0
		.amdhsa_exception_fp_ieee_div_zero 0
		.amdhsa_exception_fp_ieee_overflow 0
		.amdhsa_exception_fp_ieee_underflow 0
		.amdhsa_exception_fp_ieee_inexact 0
		.amdhsa_exception_int_div_zero 0
	.end_amdhsa_kernel
	.section	.text._Z20warp_exchange_kernelILj256ELj4ELj32ELN6hipcub21WarpExchangeAlgorithmE0E18BlockedToStripedOpiEvPT4_,"axG",@progbits,_Z20warp_exchange_kernelILj256ELj4ELj32ELN6hipcub21WarpExchangeAlgorithmE0E18BlockedToStripedOpiEvPT4_,comdat
.Lfunc_end7:
	.size	_Z20warp_exchange_kernelILj256ELj4ELj32ELN6hipcub21WarpExchangeAlgorithmE0E18BlockedToStripedOpiEvPT4_, .Lfunc_end7-_Z20warp_exchange_kernelILj256ELj4ELj32ELN6hipcub21WarpExchangeAlgorithmE0E18BlockedToStripedOpiEvPT4_
                                        ; -- End function
	.section	.AMDGPU.csdata,"",@progbits
; Kernel info:
; codeLenInByte = 152
; NumSgprs: 18
; NumVgprs: 8
; ScratchSize: 0
; MemoryBound: 0
; FloatMode: 240
; IeeeMode: 1
; LDSByteSize: 4096 bytes/workgroup (compile time only)
; SGPRBlocks: 2
; VGPRBlocks: 0
; NumSGPRsForWavesPerEU: 18
; NumVGPRsForWavesPerEU: 8
; Occupancy: 16
; WaveLimiterHint : 0
; COMPUTE_PGM_RSRC2:SCRATCH_EN: 0
; COMPUTE_PGM_RSRC2:USER_SGPR: 15
; COMPUTE_PGM_RSRC2:TRAP_HANDLER: 0
; COMPUTE_PGM_RSRC2:TGID_X_EN: 1
; COMPUTE_PGM_RSRC2:TGID_Y_EN: 0
; COMPUTE_PGM_RSRC2:TGID_Z_EN: 0
; COMPUTE_PGM_RSRC2:TIDIG_COMP_CNT: 0
	.section	.text._Z39warp_exchange_scatter_to_striped_kernelIiLj128ELj4ELj16EiEvPT3_,"axG",@progbits,_Z39warp_exchange_scatter_to_striped_kernelIiLj128ELj4ELj16EiEvPT3_,comdat
	.protected	_Z39warp_exchange_scatter_to_striped_kernelIiLj128ELj4ELj16EiEvPT3_ ; -- Begin function _Z39warp_exchange_scatter_to_striped_kernelIiLj128ELj4ELj16EiEvPT3_
	.globl	_Z39warp_exchange_scatter_to_striped_kernelIiLj128ELj4ELj16EiEvPT3_
	.p2align	8
	.type	_Z39warp_exchange_scatter_to_striped_kernelIiLj128ELj4ELj16EiEvPT3_,@function
_Z39warp_exchange_scatter_to_striped_kernelIiLj128ELj4ELj16EiEvPT3_: ; @_Z39warp_exchange_scatter_to_striped_kernelIiLj128ELj4ELj16EiEvPT3_
; %bb.0:
	v_dual_mov_b32 v2, 2 :: v_dual_lshlrev_b32 v3, 4, v0
	v_dual_mov_b32 v1, 3 :: v_dual_and_b32 v6, 0x70, v0
	v_mbcnt_lo_u32_b32 v5, -1, 0
	s_delay_alu instid0(VALU_DEP_3) | instskip(SKIP_2) | instid1(VALU_DEP_3)
	v_dual_mov_b32 v4, 0 :: v_dual_and_b32 v7, 0x700, v3
	s_load_b64 s[0:1], s[0:1], 0x0
	v_mov_b32_e32 v3, 1
	v_and_b32_e32 v5, 15, v5
	s_delay_alu instid0(VALU_DEP_3) | instskip(SKIP_1) | instid1(VALU_DEP_3)
	v_sub_nc_u32_e32 v8, v7, v6
	v_mov_b32_e32 v6, v4
	v_lshl_or_b32 v11, v5, 2, v7
	ds_store_b128 v8, v[1:4] offset:48
	v_lshl_or_b32 v3, s15, 9, v0
	; wave barrier
	ds_load_2addr_b32 v[7:8], v11 offset1:16
	v_mov_b32_e32 v1, v4
	v_or_b32_e32 v5, 0x80, v3
	v_lshlrev_b64 v[9:10], 2, v[3:4]
	v_or_b32_e32 v0, 0x100, v3
	ds_load_2addr_b32 v[11:12], v11 offset0:32 offset1:48
	v_or_b32_e32 v3, 0x180, v3
	v_lshlrev_b64 v[5:6], 2, v[5:6]
	v_lshlrev_b64 v[0:1], 2, v[0:1]
	s_waitcnt lgkmcnt(0)
	v_add_co_u32 v9, vcc_lo, s0, v9
	v_add_co_ci_u32_e32 v10, vcc_lo, s1, v10, vcc_lo
	s_delay_alu instid0(VALU_DEP_4) | instskip(SKIP_4) | instid1(VALU_DEP_4)
	v_add_co_u32 v5, vcc_lo, s0, v5
	v_lshlrev_b64 v[2:3], 2, v[3:4]
	v_add_co_ci_u32_e32 v6, vcc_lo, s1, v6, vcc_lo
	v_add_co_u32 v0, vcc_lo, s0, v0
	v_add_co_ci_u32_e32 v1, vcc_lo, s1, v1, vcc_lo
	v_add_co_u32 v2, vcc_lo, s0, v2
	v_add_co_ci_u32_e32 v3, vcc_lo, s1, v3, vcc_lo
	s_clause 0x3
	global_store_b32 v[9:10], v7, off
	global_store_b32 v[5:6], v8, off
	;; [unrolled: 1-line block ×4, first 2 shown]
	s_nop 0
	s_sendmsg sendmsg(MSG_DEALLOC_VGPRS)
	s_endpgm
	.section	.rodata,"a",@progbits
	.p2align	6, 0x0
	.amdhsa_kernel _Z39warp_exchange_scatter_to_striped_kernelIiLj128ELj4ELj16EiEvPT3_
		.amdhsa_group_segment_fixed_size 2048
		.amdhsa_private_segment_fixed_size 0
		.amdhsa_kernarg_size 8
		.amdhsa_user_sgpr_count 15
		.amdhsa_user_sgpr_dispatch_ptr 0
		.amdhsa_user_sgpr_queue_ptr 0
		.amdhsa_user_sgpr_kernarg_segment_ptr 1
		.amdhsa_user_sgpr_dispatch_id 0
		.amdhsa_user_sgpr_private_segment_size 0
		.amdhsa_wavefront_size32 1
		.amdhsa_uses_dynamic_stack 0
		.amdhsa_enable_private_segment 0
		.amdhsa_system_sgpr_workgroup_id_x 1
		.amdhsa_system_sgpr_workgroup_id_y 0
		.amdhsa_system_sgpr_workgroup_id_z 0
		.amdhsa_system_sgpr_workgroup_info 0
		.amdhsa_system_vgpr_workitem_id 0
		.amdhsa_next_free_vgpr 13
		.amdhsa_next_free_sgpr 16
		.amdhsa_reserve_vcc 1
		.amdhsa_float_round_mode_32 0
		.amdhsa_float_round_mode_16_64 0
		.amdhsa_float_denorm_mode_32 3
		.amdhsa_float_denorm_mode_16_64 3
		.amdhsa_dx10_clamp 1
		.amdhsa_ieee_mode 1
		.amdhsa_fp16_overflow 0
		.amdhsa_workgroup_processor_mode 1
		.amdhsa_memory_ordered 1
		.amdhsa_forward_progress 0
		.amdhsa_shared_vgpr_count 0
		.amdhsa_exception_fp_ieee_invalid_op 0
		.amdhsa_exception_fp_denorm_src 0
		.amdhsa_exception_fp_ieee_div_zero 0
		.amdhsa_exception_fp_ieee_overflow 0
		.amdhsa_exception_fp_ieee_underflow 0
		.amdhsa_exception_fp_ieee_inexact 0
		.amdhsa_exception_int_div_zero 0
	.end_amdhsa_kernel
	.section	.text._Z39warp_exchange_scatter_to_striped_kernelIiLj128ELj4ELj16EiEvPT3_,"axG",@progbits,_Z39warp_exchange_scatter_to_striped_kernelIiLj128ELj4ELj16EiEvPT3_,comdat
.Lfunc_end8:
	.size	_Z39warp_exchange_scatter_to_striped_kernelIiLj128ELj4ELj16EiEvPT3_, .Lfunc_end8-_Z39warp_exchange_scatter_to_striped_kernelIiLj128ELj4ELj16EiEvPT3_
                                        ; -- End function
	.section	.AMDGPU.csdata,"",@progbits
; Kernel info:
; codeLenInByte = 276
; NumSgprs: 18
; NumVgprs: 13
; ScratchSize: 0
; MemoryBound: 0
; FloatMode: 240
; IeeeMode: 1
; LDSByteSize: 2048 bytes/workgroup (compile time only)
; SGPRBlocks: 2
; VGPRBlocks: 1
; NumSGPRsForWavesPerEU: 18
; NumVGPRsForWavesPerEU: 13
; Occupancy: 16
; WaveLimiterHint : 0
; COMPUTE_PGM_RSRC2:SCRATCH_EN: 0
; COMPUTE_PGM_RSRC2:USER_SGPR: 15
; COMPUTE_PGM_RSRC2:TRAP_HANDLER: 0
; COMPUTE_PGM_RSRC2:TGID_X_EN: 1
; COMPUTE_PGM_RSRC2:TGID_Y_EN: 0
; COMPUTE_PGM_RSRC2:TGID_Z_EN: 0
; COMPUTE_PGM_RSRC2:TIDIG_COMP_CNT: 0
	.section	.text._Z39warp_exchange_scatter_to_striped_kernelIiLj128ELj4ELj32EiEvPT3_,"axG",@progbits,_Z39warp_exchange_scatter_to_striped_kernelIiLj128ELj4ELj32EiEvPT3_,comdat
	.protected	_Z39warp_exchange_scatter_to_striped_kernelIiLj128ELj4ELj32EiEvPT3_ ; -- Begin function _Z39warp_exchange_scatter_to_striped_kernelIiLj128ELj4ELj32EiEvPT3_
	.globl	_Z39warp_exchange_scatter_to_striped_kernelIiLj128ELj4ELj32EiEvPT3_
	.p2align	8
	.type	_Z39warp_exchange_scatter_to_striped_kernelIiLj128ELj4ELj32EiEvPT3_,@function
_Z39warp_exchange_scatter_to_striped_kernelIiLj128ELj4ELj32EiEvPT3_: ; @_Z39warp_exchange_scatter_to_striped_kernelIiLj128ELj4ELj32EiEvPT3_
; %bb.0:
	v_lshrrev_b32_e32 v1, 5, v0
	s_load_b64 s[0:1], s[0:1], 0x0
	v_dual_mov_b32 v3, 1 :: v_dual_mov_b32 v4, 0
	v_mbcnt_lo_u32_b32 v8, -1, 0
	s_delay_alu instid0(VALU_DEP_3) | instskip(SKIP_1) | instid1(VALU_DEP_1)
	v_dual_mov_b32 v2, 2 :: v_dual_lshlrev_b32 v5, 9, v1
	v_dual_mov_b32 v1, 3 :: v_dual_lshlrev_b32 v6, 4, v1
	v_sub_nc_u32_e32 v7, v5, v6
	v_mov_b32_e32 v6, v4
	ds_store_b128 v7, v[1:4] offset:112
	v_lshl_or_b32 v3, s15, 9, v0
	v_lshl_or_b32 v2, v8, 2, v5
	; wave barrier
	ds_load_2addr_b32 v[9:10], v2 offset1:32
	ds_load_2addr_b32 v[11:12], v2 offset0:64 offset1:96
	v_or_b32_e32 v5, 0x80, v3
	v_lshlrev_b64 v[7:8], 2, v[3:4]
	v_mov_b32_e32 v1, v4
	v_or_b32_e32 v0, 0x100, v3
	v_or_b32_e32 v3, 0x180, v3
	v_lshlrev_b64 v[5:6], 2, v[5:6]
	s_waitcnt lgkmcnt(0)
	v_add_co_u32 v7, vcc_lo, s0, v7
	v_lshlrev_b64 v[0:1], 2, v[0:1]
	v_add_co_ci_u32_e32 v8, vcc_lo, s1, v8, vcc_lo
	v_lshlrev_b64 v[2:3], 2, v[3:4]
	v_add_co_u32 v4, vcc_lo, s0, v5
	v_add_co_ci_u32_e32 v5, vcc_lo, s1, v6, vcc_lo
	v_add_co_u32 v0, vcc_lo, s0, v0
	v_add_co_ci_u32_e32 v1, vcc_lo, s1, v1, vcc_lo
	;; [unrolled: 2-line block ×3, first 2 shown]
	s_clause 0x3
	global_store_b32 v[7:8], v9, off
	global_store_b32 v[4:5], v10, off
	;; [unrolled: 1-line block ×4, first 2 shown]
	s_nop 0
	s_sendmsg sendmsg(MSG_DEALLOC_VGPRS)
	s_endpgm
	.section	.rodata,"a",@progbits
	.p2align	6, 0x0
	.amdhsa_kernel _Z39warp_exchange_scatter_to_striped_kernelIiLj128ELj4ELj32EiEvPT3_
		.amdhsa_group_segment_fixed_size 2048
		.amdhsa_private_segment_fixed_size 0
		.amdhsa_kernarg_size 8
		.amdhsa_user_sgpr_count 15
		.amdhsa_user_sgpr_dispatch_ptr 0
		.amdhsa_user_sgpr_queue_ptr 0
		.amdhsa_user_sgpr_kernarg_segment_ptr 1
		.amdhsa_user_sgpr_dispatch_id 0
		.amdhsa_user_sgpr_private_segment_size 0
		.amdhsa_wavefront_size32 1
		.amdhsa_uses_dynamic_stack 0
		.amdhsa_enable_private_segment 0
		.amdhsa_system_sgpr_workgroup_id_x 1
		.amdhsa_system_sgpr_workgroup_id_y 0
		.amdhsa_system_sgpr_workgroup_id_z 0
		.amdhsa_system_sgpr_workgroup_info 0
		.amdhsa_system_vgpr_workitem_id 0
		.amdhsa_next_free_vgpr 13
		.amdhsa_next_free_sgpr 16
		.amdhsa_reserve_vcc 1
		.amdhsa_float_round_mode_32 0
		.amdhsa_float_round_mode_16_64 0
		.amdhsa_float_denorm_mode_32 3
		.amdhsa_float_denorm_mode_16_64 3
		.amdhsa_dx10_clamp 1
		.amdhsa_ieee_mode 1
		.amdhsa_fp16_overflow 0
		.amdhsa_workgroup_processor_mode 1
		.amdhsa_memory_ordered 1
		.amdhsa_forward_progress 0
		.amdhsa_shared_vgpr_count 0
		.amdhsa_exception_fp_ieee_invalid_op 0
		.amdhsa_exception_fp_denorm_src 0
		.amdhsa_exception_fp_ieee_div_zero 0
		.amdhsa_exception_fp_ieee_overflow 0
		.amdhsa_exception_fp_ieee_underflow 0
		.amdhsa_exception_fp_ieee_inexact 0
		.amdhsa_exception_int_div_zero 0
	.end_amdhsa_kernel
	.section	.text._Z39warp_exchange_scatter_to_striped_kernelIiLj128ELj4ELj32EiEvPT3_,"axG",@progbits,_Z39warp_exchange_scatter_to_striped_kernelIiLj128ELj4ELj32EiEvPT3_,comdat
.Lfunc_end9:
	.size	_Z39warp_exchange_scatter_to_striped_kernelIiLj128ELj4ELj32EiEvPT3_, .Lfunc_end9-_Z39warp_exchange_scatter_to_striped_kernelIiLj128ELj4ELj32EiEvPT3_
                                        ; -- End function
	.section	.AMDGPU.csdata,"",@progbits
; Kernel info:
; codeLenInByte = 256
; NumSgprs: 18
; NumVgprs: 13
; ScratchSize: 0
; MemoryBound: 0
; FloatMode: 240
; IeeeMode: 1
; LDSByteSize: 2048 bytes/workgroup (compile time only)
; SGPRBlocks: 2
; VGPRBlocks: 1
; NumSGPRsForWavesPerEU: 18
; NumVGPRsForWavesPerEU: 13
; Occupancy: 16
; WaveLimiterHint : 0
; COMPUTE_PGM_RSRC2:SCRATCH_EN: 0
; COMPUTE_PGM_RSRC2:USER_SGPR: 15
; COMPUTE_PGM_RSRC2:TRAP_HANDLER: 0
; COMPUTE_PGM_RSRC2:TGID_X_EN: 1
; COMPUTE_PGM_RSRC2:TGID_Y_EN: 0
; COMPUTE_PGM_RSRC2:TGID_Z_EN: 0
; COMPUTE_PGM_RSRC2:TIDIG_COMP_CNT: 0
	.section	.text._Z39warp_exchange_scatter_to_striped_kernelIiLj256ELj4ELj32EiEvPT3_,"axG",@progbits,_Z39warp_exchange_scatter_to_striped_kernelIiLj256ELj4ELj32EiEvPT3_,comdat
	.protected	_Z39warp_exchange_scatter_to_striped_kernelIiLj256ELj4ELj32EiEvPT3_ ; -- Begin function _Z39warp_exchange_scatter_to_striped_kernelIiLj256ELj4ELj32EiEvPT3_
	.globl	_Z39warp_exchange_scatter_to_striped_kernelIiLj256ELj4ELj32EiEvPT3_
	.p2align	8
	.type	_Z39warp_exchange_scatter_to_striped_kernelIiLj256ELj4ELj32EiEvPT3_,@function
_Z39warp_exchange_scatter_to_striped_kernelIiLj256ELj4ELj32EiEvPT3_: ; @_Z39warp_exchange_scatter_to_striped_kernelIiLj256ELj4ELj32EiEvPT3_
; %bb.0:
	v_lshrrev_b32_e32 v1, 5, v0
	s_load_b64 s[0:1], s[0:1], 0x0
	v_dual_mov_b32 v3, 1 :: v_dual_mov_b32 v4, 0
	v_mbcnt_lo_u32_b32 v8, -1, 0
	s_delay_alu instid0(VALU_DEP_3) | instskip(SKIP_1) | instid1(VALU_DEP_1)
	v_dual_mov_b32 v2, 2 :: v_dual_lshlrev_b32 v5, 9, v1
	v_dual_mov_b32 v1, 3 :: v_dual_lshlrev_b32 v6, 4, v1
	v_sub_nc_u32_e32 v7, v5, v6
	v_mov_b32_e32 v6, v4
	ds_store_b128 v7, v[1:4] offset:112
	v_lshl_or_b32 v3, s15, 10, v0
	v_lshl_or_b32 v2, v8, 2, v5
	; wave barrier
	ds_load_2addr_b32 v[9:10], v2 offset1:32
	ds_load_2addr_b32 v[11:12], v2 offset0:64 offset1:96
	v_or_b32_e32 v5, 0x100, v3
	v_lshlrev_b64 v[7:8], 2, v[3:4]
	v_mov_b32_e32 v1, v4
	v_or_b32_e32 v0, 0x200, v3
	v_or_b32_e32 v3, 0x300, v3
	v_lshlrev_b64 v[5:6], 2, v[5:6]
	s_waitcnt lgkmcnt(0)
	v_add_co_u32 v7, vcc_lo, s0, v7
	v_lshlrev_b64 v[0:1], 2, v[0:1]
	v_add_co_ci_u32_e32 v8, vcc_lo, s1, v8, vcc_lo
	v_lshlrev_b64 v[2:3], 2, v[3:4]
	v_add_co_u32 v4, vcc_lo, s0, v5
	v_add_co_ci_u32_e32 v5, vcc_lo, s1, v6, vcc_lo
	v_add_co_u32 v0, vcc_lo, s0, v0
	v_add_co_ci_u32_e32 v1, vcc_lo, s1, v1, vcc_lo
	;; [unrolled: 2-line block ×3, first 2 shown]
	s_clause 0x3
	global_store_b32 v[7:8], v9, off
	global_store_b32 v[4:5], v10, off
	global_store_b32 v[0:1], v11, off
	global_store_b32 v[2:3], v12, off
	s_nop 0
	s_sendmsg sendmsg(MSG_DEALLOC_VGPRS)
	s_endpgm
	.section	.rodata,"a",@progbits
	.p2align	6, 0x0
	.amdhsa_kernel _Z39warp_exchange_scatter_to_striped_kernelIiLj256ELj4ELj32EiEvPT3_
		.amdhsa_group_segment_fixed_size 4096
		.amdhsa_private_segment_fixed_size 0
		.amdhsa_kernarg_size 8
		.amdhsa_user_sgpr_count 15
		.amdhsa_user_sgpr_dispatch_ptr 0
		.amdhsa_user_sgpr_queue_ptr 0
		.amdhsa_user_sgpr_kernarg_segment_ptr 1
		.amdhsa_user_sgpr_dispatch_id 0
		.amdhsa_user_sgpr_private_segment_size 0
		.amdhsa_wavefront_size32 1
		.amdhsa_uses_dynamic_stack 0
		.amdhsa_enable_private_segment 0
		.amdhsa_system_sgpr_workgroup_id_x 1
		.amdhsa_system_sgpr_workgroup_id_y 0
		.amdhsa_system_sgpr_workgroup_id_z 0
		.amdhsa_system_sgpr_workgroup_info 0
		.amdhsa_system_vgpr_workitem_id 0
		.amdhsa_next_free_vgpr 13
		.amdhsa_next_free_sgpr 16
		.amdhsa_reserve_vcc 1
		.amdhsa_float_round_mode_32 0
		.amdhsa_float_round_mode_16_64 0
		.amdhsa_float_denorm_mode_32 3
		.amdhsa_float_denorm_mode_16_64 3
		.amdhsa_dx10_clamp 1
		.amdhsa_ieee_mode 1
		.amdhsa_fp16_overflow 0
		.amdhsa_workgroup_processor_mode 1
		.amdhsa_memory_ordered 1
		.amdhsa_forward_progress 0
		.amdhsa_shared_vgpr_count 0
		.amdhsa_exception_fp_ieee_invalid_op 0
		.amdhsa_exception_fp_denorm_src 0
		.amdhsa_exception_fp_ieee_div_zero 0
		.amdhsa_exception_fp_ieee_overflow 0
		.amdhsa_exception_fp_ieee_underflow 0
		.amdhsa_exception_fp_ieee_inexact 0
		.amdhsa_exception_int_div_zero 0
	.end_amdhsa_kernel
	.section	.text._Z39warp_exchange_scatter_to_striped_kernelIiLj256ELj4ELj32EiEvPT3_,"axG",@progbits,_Z39warp_exchange_scatter_to_striped_kernelIiLj256ELj4ELj32EiEvPT3_,comdat
.Lfunc_end10:
	.size	_Z39warp_exchange_scatter_to_striped_kernelIiLj256ELj4ELj32EiEvPT3_, .Lfunc_end10-_Z39warp_exchange_scatter_to_striped_kernelIiLj256ELj4ELj32EiEvPT3_
                                        ; -- End function
	.section	.AMDGPU.csdata,"",@progbits
; Kernel info:
; codeLenInByte = 256
; NumSgprs: 18
; NumVgprs: 13
; ScratchSize: 0
; MemoryBound: 0
; FloatMode: 240
; IeeeMode: 1
; LDSByteSize: 4096 bytes/workgroup (compile time only)
; SGPRBlocks: 2
; VGPRBlocks: 1
; NumSGPRsForWavesPerEU: 18
; NumVGPRsForWavesPerEU: 13
; Occupancy: 16
; WaveLimiterHint : 0
; COMPUTE_PGM_RSRC2:SCRATCH_EN: 0
; COMPUTE_PGM_RSRC2:USER_SGPR: 15
; COMPUTE_PGM_RSRC2:TRAP_HANDLER: 0
; COMPUTE_PGM_RSRC2:TGID_X_EN: 1
; COMPUTE_PGM_RSRC2:TGID_Y_EN: 0
; COMPUTE_PGM_RSRC2:TGID_Z_EN: 0
; COMPUTE_PGM_RSRC2:TIDIG_COMP_CNT: 0
	.section	.text._Z20warp_exchange_kernelILj128ELj16ELj16ELN6hipcub21WarpExchangeAlgorithmE1E18StripedToBlockedOpiEvPT4_,"axG",@progbits,_Z20warp_exchange_kernelILj128ELj16ELj16ELN6hipcub21WarpExchangeAlgorithmE1E18StripedToBlockedOpiEvPT4_,comdat
	.protected	_Z20warp_exchange_kernelILj128ELj16ELj16ELN6hipcub21WarpExchangeAlgorithmE1E18StripedToBlockedOpiEvPT4_ ; -- Begin function _Z20warp_exchange_kernelILj128ELj16ELj16ELN6hipcub21WarpExchangeAlgorithmE1E18StripedToBlockedOpiEvPT4_
	.globl	_Z20warp_exchange_kernelILj128ELj16ELj16ELN6hipcub21WarpExchangeAlgorithmE1E18StripedToBlockedOpiEvPT4_
	.p2align	8
	.type	_Z20warp_exchange_kernelILj128ELj16ELj16ELN6hipcub21WarpExchangeAlgorithmE1E18StripedToBlockedOpiEvPT4_,@function
_Z20warp_exchange_kernelILj128ELj16ELj16ELN6hipcub21WarpExchangeAlgorithmE1E18StripedToBlockedOpiEvPT4_: ; @_Z20warp_exchange_kernelILj128ELj16ELj16ELN6hipcub21WarpExchangeAlgorithmE1E18StripedToBlockedOpiEvPT4_
; %bb.0:
	s_load_b64 s[0:1], s[0:1], 0x4
	v_mbcnt_lo_u32_b32 v17, -1, 0
	v_bfe_u32 v9, v0, 10, 10
	v_and_b32_e32 v18, 0x3ff, v0
	v_bfe_u32 v0, v0, 20, 10
	s_delay_alu instid0(VALU_DEP_4) | instskip(SKIP_2) | instid1(VALU_DEP_3)
	v_dual_mov_b32 v10, 9 :: v_dual_and_b32 v19, 8, v17
	v_dual_mov_b32 v1, 0 :: v_dual_mov_b32 v2, 1
	v_dual_mov_b32 v3, 2 :: v_dual_mov_b32 v4, 3
	v_dual_mov_b32 v11, 10 :: v_dual_lshlrev_b32 v12, 2, v19
	v_dual_mov_b32 v5, 4 :: v_dual_mov_b32 v6, 5
	v_dual_mov_b32 v7, 6 :: v_dual_mov_b32 v8, 7
	s_delay_alu instid0(VALU_DEP_3)
	v_xor_b32_e32 v16, 32, v12
	v_mov_b32_e32 v12, 11
	v_cmp_eq_u32_e32 vcc_lo, 0, v19
	s_waitcnt lgkmcnt(0)
	v_mul_u32_u24_e32 v9, s1, v9
	s_lshr_b32 s0, s0, 16
	v_dual_mov_b32 v14, 13 :: v_dual_mov_b32 v15, 14
	s_mul_i32 s0, s0, s1
	s_delay_alu instid0(VALU_DEP_2) | instid1(SALU_CYCLE_1)
	v_mad_u32_u24 v13, s0, v18, v9
	v_mov_b32_e32 v9, 8
	s_delay_alu instid0(VALU_DEP_2)
	v_add_lshl_u32 v20, v13, v0, 6
	v_mov_b32_e32 v13, 12
	ds_store_b128 v20, v[1:4]
	ds_store_b128 v20, v[5:8] offset:16
	ds_store_b128 v20, v[9:12] offset:32
	v_or_b32_e32 v0, v20, v16
	v_cndmask_b32_e64 v3, 4, 36, vcc_lo
	v_mov_b32_e32 v16, 15
	v_and_b32_e32 v4, 4, v17
	v_cndmask_b32_e64 v6, 24, 56, vcc_lo
	ds_load_b32 v2, v0
	v_or_b32_e32 v3, v20, v3
	v_cmp_eq_u32_e64 s0, 0, v4
	v_or_b32_e32 v6, v20, v6
	s_delay_alu instid0(VALU_DEP_2) | instskip(SKIP_1) | instid1(VALU_DEP_2)
	v_cndmask_b32_e64 v7, 12, 28, s0
	v_cndmask_b32_e64 v8, 36, 52, s0
	v_or_b32_e32 v7, v20, v7
	s_delay_alu instid0(VALU_DEP_2)
	v_or_b32_e32 v8, v20, v8
	s_waitcnt lgkmcnt(0)
	ds_swizzle_b32 v2, v2 offset:swizzle(SWAP,8)
	s_waitcnt lgkmcnt(0)
	ds_store_b32 v0, v2
	ds_load_b32 v0, v3
	v_cndmask_b32_e64 v2, 8, 40, vcc_lo
	s_delay_alu instid0(VALU_DEP_1)
	v_or_b32_e32 v2, v20, v2
	s_waitcnt lgkmcnt(0)
	ds_swizzle_b32 v0, v0 offset:swizzle(SWAP,8)
	s_waitcnt lgkmcnt(0)
	ds_store_b32 v3, v0
	ds_load_b32 v0, v2
	v_cndmask_b32_e64 v3, 12, 44, vcc_lo
	s_delay_alu instid0(VALU_DEP_1)
	;; [unrolled: 8-line block ×3, first 2 shown]
	v_or_b32_e32 v2, v20, v2
	s_waitcnt lgkmcnt(0)
	ds_swizzle_b32 v0, v0 offset:swizzle(SWAP,8)
	ds_store_b128 v20, v[13:16] offset:48
	s_waitcnt lgkmcnt(1)
	ds_store_b32 v3, v0
	ds_load_b32 v0, v2
	v_cndmask_b32_e64 v3, 20, 52, vcc_lo
	s_delay_alu instid0(VALU_DEP_1)
	v_or_b32_e32 v3, v20, v3
	s_waitcnt lgkmcnt(0)
	ds_swizzle_b32 v0, v0 offset:swizzle(SWAP,8)
	s_waitcnt lgkmcnt(0)
	ds_store_b32 v2, v0
	ds_load_b32 v0, v3
	v_lshlrev_b32_e32 v2, 2, v4
	v_cndmask_b32_e64 v4, 28, 60, vcc_lo
	s_delay_alu instid0(VALU_DEP_2) | instskip(NEXT) | instid1(VALU_DEP_2)
	v_xor_b32_e32 v2, 16, v2
	v_or_b32_e32 v4, v20, v4
	s_delay_alu instid0(VALU_DEP_2)
	v_or_b32_e32 v2, v20, v2
	ds_load_b32 v5, v2
	s_waitcnt lgkmcnt(1)
	ds_swizzle_b32 v0, v0 offset:swizzle(SWAP,8)
	s_waitcnt lgkmcnt(1)
	ds_swizzle_b32 v5, v5 offset:swizzle(SWAP,4)
	s_waitcnt lgkmcnt(1)
	ds_store_b32 v3, v0
	ds_load_b32 v0, v6
	v_cndmask_b32_e64 v3, 4, 20, s0
	s_delay_alu instid0(VALU_DEP_1)
	v_or_b32_e32 v3, v20, v3
	s_waitcnt lgkmcnt(2)
	ds_store_b32 v2, v5
	ds_load_b32 v2, v3
	v_cndmask_b32_e64 v5, 8, 24, s0
	s_waitcnt lgkmcnt(2)
	ds_swizzle_b32 v0, v0 offset:swizzle(SWAP,8)
	v_or_b32_e32 v5, v20, v5
	s_waitcnt lgkmcnt(0)
	ds_store_b32 v6, v0
	ds_load_b32 v0, v4
	ds_swizzle_b32 v2, v2 offset:swizzle(SWAP,4)
	v_and_b32_e32 v6, 2, v17
	s_delay_alu instid0(VALU_DEP_1) | instskip(SKIP_2) | instid1(VALU_DEP_2)
	v_cmp_eq_u32_e32 vcc_lo, 0, v6
	v_cndmask_b32_e64 v9, 32, 40, vcc_lo
	v_cndmask_b32_e64 v11, 48, 56, vcc_lo
	v_or_b32_e32 v9, v20, v9
	s_delay_alu instid0(VALU_DEP_2)
	v_or_b32_e32 v11, v20, v11
	s_waitcnt lgkmcnt(1)
	ds_swizzle_b32 v0, v0 offset:swizzle(SWAP,8)
	s_waitcnt lgkmcnt(1)
	ds_store_b32 v3, v2
	v_cndmask_b32_e64 v3, 32, 48, s0
	ds_load_b32 v2, v5
	v_or_b32_e32 v3, v20, v3
	s_waitcnt lgkmcnt(2)
	ds_store_b32 v4, v0
	ds_load_b32 v0, v3
	v_lshlrev_b32_e32 v4, 2, v6
	s_waitcnt lgkmcnt(2)
	ds_swizzle_b32 v2, v2 offset:swizzle(SWAP,4)
	v_xor_b32_e32 v4, 8, v4
	s_delay_alu instid0(VALU_DEP_1)
	v_or_b32_e32 v4, v20, v4
	s_waitcnt lgkmcnt(1)
	ds_swizzle_b32 v0, v0 offset:swizzle(SWAP,4)
	s_waitcnt lgkmcnt(1)
	ds_store_b32 v5, v2
	ds_load_b32 v2, v7
	ds_load_b32 v5, v4
	s_waitcnt lgkmcnt(3)
	ds_store_b32 v3, v0
	ds_load_b32 v0, v8
	s_waitcnt lgkmcnt(3)
	ds_swizzle_b32 v2, v2 offset:swizzle(SWAP,4)
	s_waitcnt lgkmcnt(3)
	ds_swizzle_b32 v5, v5 offset:swizzle(SWAP,2)
	v_cndmask_b32_e64 v3, 4, 12, vcc_lo
	s_waitcnt lgkmcnt(1)
	ds_store_b32 v7, v2
	s_waitcnt lgkmcnt(1)
	ds_store_b32 v4, v5
	ds_swizzle_b32 v0, v0 offset:swizzle(SWAP,4)
	v_or_b32_e32 v3, v20, v3
	v_cndmask_b32_e64 v4, 40, 56, s0
	v_cndmask_b32_e64 v7, 16, 24, vcc_lo
	v_and_b32_e32 v5, 1, v17
	v_mov_b32_e32 v17, v1
	ds_load_b32 v2, v3
	v_or_b32_e32 v4, v20, v4
	v_or_b32_e32 v7, v20, v7
	v_lshlrev_b32_e32 v6, 2, v5
	s_delay_alu instid0(VALU_DEP_1) | instskip(NEXT) | instid1(VALU_DEP_1)
	v_xor_b32_e32 v6, 4, v6
	v_or_b32_e32 v6, v20, v6
	s_waitcnt lgkmcnt(1)
	ds_store_b32 v8, v0
	ds_load_b32 v0, v4
	ds_load_b32 v8, v7
	s_waitcnt lgkmcnt(3)
	ds_swizzle_b32 v2, v2 offset:swizzle(SWAP,2)
	s_waitcnt lgkmcnt(2)
	ds_swizzle_b32 v0, v0 offset:swizzle(SWAP,4)
	;; [unrolled: 2-line block ×3, first 2 shown]
	s_waitcnt lgkmcnt(2)
	ds_store_b32 v3, v2
	v_cndmask_b32_e64 v3, 44, 60, s0
	ds_load_b32 v2, v6
	v_cmp_eq_u32_e64 s0, 0, v5
	v_or_b32_e32 v3, v20, v3
	s_delay_alu instid0(VALU_DEP_2)
	v_cndmask_b32_e64 v5, 8, 12, s0
	v_cndmask_b32_e64 v12, 16, 20, s0
	v_cndmask_b32_e64 v15, 48, 52, s0
	v_cndmask_b32_e64 v13, 40, 44, s0
	v_cndmask_b32_e64 v16, 56, 60, s0
	v_or_b32_e32 v5, v20, v5
	v_or_b32_e32 v12, v20, v12
	s_waitcnt lgkmcnt(3)
	ds_store_b32 v4, v0
	s_waitcnt lgkmcnt(3)
	ds_store_b32 v7, v8
	ds_load_b32 v0, v3
	v_cndmask_b32_e64 v4, 20, 28, vcc_lo
	v_or_b32_e32 v15, v20, v15
	v_or_b32_e32 v13, v20, v13
	;; [unrolled: 1-line block ×3, first 2 shown]
	s_waitcnt lgkmcnt(3)
	ds_swizzle_b32 v2, v2 offset:swizzle(SWAP,1)
	v_or_b32_e32 v4, v20, v4
	ds_load_b32 v7, v9
	ds_load_b32 v8, v4
	;; [unrolled: 1-line block ×3, first 2 shown]
	s_waitcnt lgkmcnt(4)
	ds_swizzle_b32 v0, v0 offset:swizzle(SWAP,4)
	s_waitcnt lgkmcnt(3)
	ds_swizzle_b32 v7, v7 offset:swizzle(SWAP,2)
	;; [unrolled: 2-line block ×4, first 2 shown]
	s_waitcnt lgkmcnt(3)
	ds_store_b32 v3, v0
	ds_load_b32 v0, v11
	v_cndmask_b32_e64 v3, 36, 44, vcc_lo
	s_delay_alu instid0(VALU_DEP_1)
	v_or_b32_e32 v3, v20, v3
	s_waitcnt lgkmcnt(3)
	ds_store_b32 v4, v8
	v_cndmask_b32_e64 v8, 52, 60, vcc_lo
	ds_load_b32 v4, v12
	v_or_b32_e32 v8, v20, v8
	s_waitcnt lgkmcnt(2)
	ds_swizzle_b32 v0, v0 offset:swizzle(SWAP,2)
	ds_store_b32 v9, v7
	ds_load_b32 v7, v3
	v_cndmask_b32_e64 v9, 24, 28, s0
	s_delay_alu instid0(VALU_DEP_1)
	v_or_b32_e32 v9, v20, v9
	s_waitcnt lgkmcnt(2)
	ds_store_b32 v11, v0
	ds_load_b32 v0, v8
	s_waitcnt lgkmcnt(2)
	ds_swizzle_b32 v7, v7 offset:swizzle(SWAP,2)
	v_cndmask_b32_e64 v11, 32, 36, s0
	ds_swizzle_b32 v4, v4 offset:swizzle(SWAP,1)
	s_load_b64 s[0:1], s[2:3], 0x0
	v_or_b32_e32 v11, v20, v11
	s_waitcnt lgkmcnt(0)
	ds_swizzle_b32 v0, v0 offset:swizzle(SWAP,2)
	ds_store_b32 v3, v7
	ds_load_b32 v3, v9
	ds_load_b32 v7, v11
	;; [unrolled: 1-line block ×3, first 2 shown]
	s_waitcnt lgkmcnt(2)
	ds_swizzle_b32 v3, v3 offset:swizzle(SWAP,1)
	ds_store_b32 v8, v0
	ds_load_b32 v0, v15
	ds_load_b32 v8, v19
	s_waitcnt lgkmcnt(5)
	ds_swizzle_b32 v7, v7 offset:swizzle(SWAP,1)
	s_waitcnt lgkmcnt(5)
	ds_swizzle_b32 v14, v14 offset:swizzle(SWAP,1)
	ds_store_b32 v6, v2
	s_waitcnt lgkmcnt(2)
	ds_store_b32 v11, v7
	ds_store_b32 v5, v10
	s_waitcnt lgkmcnt(3)
	ds_store_b32 v13, v14
	ds_store_b32 v12, v4
	;; [unrolled: 1-line block ×3, first 2 shown]
	ds_swizzle_b32 v21, v0 offset:swizzle(SWAP,1)
	ds_swizzle_b32 v8, v8 offset:swizzle(SWAP,1)
	v_lshlrev_b32_e32 v0, 4, v18
	s_delay_alu instid0(VALU_DEP_1)
	v_lshl_or_b32 v16, s15, 11, v0
	ds_load_b128 v[0:3], v20
	ds_load_b128 v[4:7], v20 offset:16
	s_waitcnt lgkmcnt(3)
	ds_store_b32 v15, v21
	s_waitcnt lgkmcnt(3)
	ds_store_b32 v19, v8
	ds_load_b128 v[8:11], v20 offset:32
	ds_load_b128 v[12:15], v20 offset:48
	v_lshlrev_b64 v[16:17], 2, v[16:17]
	s_delay_alu instid0(VALU_DEP_1) | instskip(NEXT) | instid1(VALU_DEP_2)
	v_add_co_u32 v16, vcc_lo, s0, v16
	v_add_co_ci_u32_e32 v17, vcc_lo, s1, v17, vcc_lo
	s_waitcnt lgkmcnt(5)
	global_store_b128 v[16:17], v[0:3], off
	s_waitcnt lgkmcnt(4)
	global_store_b128 v[16:17], v[4:7], off offset:16
	s_waitcnt lgkmcnt(1)
	global_store_b128 v[16:17], v[8:11], off offset:32
	;; [unrolled: 2-line block ×3, first 2 shown]
	s_nop 0
	s_sendmsg sendmsg(MSG_DEALLOC_VGPRS)
	s_endpgm
	.section	.rodata,"a",@progbits
	.p2align	6, 0x0
	.amdhsa_kernel _Z20warp_exchange_kernelILj128ELj16ELj16ELN6hipcub21WarpExchangeAlgorithmE1E18StripedToBlockedOpiEvPT4_
		.amdhsa_group_segment_fixed_size 8192
		.amdhsa_private_segment_fixed_size 0
		.amdhsa_kernarg_size 8
		.amdhsa_user_sgpr_count 15
		.amdhsa_user_sgpr_dispatch_ptr 1
		.amdhsa_user_sgpr_queue_ptr 0
		.amdhsa_user_sgpr_kernarg_segment_ptr 1
		.amdhsa_user_sgpr_dispatch_id 0
		.amdhsa_user_sgpr_private_segment_size 0
		.amdhsa_wavefront_size32 1
		.amdhsa_uses_dynamic_stack 0
		.amdhsa_enable_private_segment 0
		.amdhsa_system_sgpr_workgroup_id_x 1
		.amdhsa_system_sgpr_workgroup_id_y 0
		.amdhsa_system_sgpr_workgroup_id_z 0
		.amdhsa_system_sgpr_workgroup_info 0
		.amdhsa_system_vgpr_workitem_id 2
		.amdhsa_next_free_vgpr 22
		.amdhsa_next_free_sgpr 16
		.amdhsa_reserve_vcc 1
		.amdhsa_float_round_mode_32 0
		.amdhsa_float_round_mode_16_64 0
		.amdhsa_float_denorm_mode_32 3
		.amdhsa_float_denorm_mode_16_64 3
		.amdhsa_dx10_clamp 1
		.amdhsa_ieee_mode 1
		.amdhsa_fp16_overflow 0
		.amdhsa_workgroup_processor_mode 1
		.amdhsa_memory_ordered 1
		.amdhsa_forward_progress 0
		.amdhsa_shared_vgpr_count 0
		.amdhsa_exception_fp_ieee_invalid_op 0
		.amdhsa_exception_fp_denorm_src 0
		.amdhsa_exception_fp_ieee_div_zero 0
		.amdhsa_exception_fp_ieee_overflow 0
		.amdhsa_exception_fp_ieee_underflow 0
		.amdhsa_exception_fp_ieee_inexact 0
		.amdhsa_exception_int_div_zero 0
	.end_amdhsa_kernel
	.section	.text._Z20warp_exchange_kernelILj128ELj16ELj16ELN6hipcub21WarpExchangeAlgorithmE1E18StripedToBlockedOpiEvPT4_,"axG",@progbits,_Z20warp_exchange_kernelILj128ELj16ELj16ELN6hipcub21WarpExchangeAlgorithmE1E18StripedToBlockedOpiEvPT4_,comdat
.Lfunc_end11:
	.size	_Z20warp_exchange_kernelILj128ELj16ELj16ELN6hipcub21WarpExchangeAlgorithmE1E18StripedToBlockedOpiEvPT4_, .Lfunc_end11-_Z20warp_exchange_kernelILj128ELj16ELj16ELN6hipcub21WarpExchangeAlgorithmE1E18StripedToBlockedOpiEvPT4_
                                        ; -- End function
	.section	.AMDGPU.csdata,"",@progbits
; Kernel info:
; codeLenInByte = 1792
; NumSgprs: 18
; NumVgprs: 22
; ScratchSize: 0
; MemoryBound: 0
; FloatMode: 240
; IeeeMode: 1
; LDSByteSize: 8192 bytes/workgroup (compile time only)
; SGPRBlocks: 2
; VGPRBlocks: 2
; NumSGPRsForWavesPerEU: 18
; NumVGPRsForWavesPerEU: 22
; Occupancy: 16
; WaveLimiterHint : 0
; COMPUTE_PGM_RSRC2:SCRATCH_EN: 0
; COMPUTE_PGM_RSRC2:USER_SGPR: 15
; COMPUTE_PGM_RSRC2:TRAP_HANDLER: 0
; COMPUTE_PGM_RSRC2:TGID_X_EN: 1
; COMPUTE_PGM_RSRC2:TGID_Y_EN: 0
; COMPUTE_PGM_RSRC2:TGID_Z_EN: 0
; COMPUTE_PGM_RSRC2:TIDIG_COMP_CNT: 2
	.section	.text._Z20warp_exchange_kernelILj128ELj16ELj16ELN6hipcub21WarpExchangeAlgorithmE1E18BlockedToStripedOpiEvPT4_,"axG",@progbits,_Z20warp_exchange_kernelILj128ELj16ELj16ELN6hipcub21WarpExchangeAlgorithmE1E18BlockedToStripedOpiEvPT4_,comdat
	.protected	_Z20warp_exchange_kernelILj128ELj16ELj16ELN6hipcub21WarpExchangeAlgorithmE1E18BlockedToStripedOpiEvPT4_ ; -- Begin function _Z20warp_exchange_kernelILj128ELj16ELj16ELN6hipcub21WarpExchangeAlgorithmE1E18BlockedToStripedOpiEvPT4_
	.globl	_Z20warp_exchange_kernelILj128ELj16ELj16ELN6hipcub21WarpExchangeAlgorithmE1E18BlockedToStripedOpiEvPT4_
	.p2align	8
	.type	_Z20warp_exchange_kernelILj128ELj16ELj16ELN6hipcub21WarpExchangeAlgorithmE1E18BlockedToStripedOpiEvPT4_,@function
_Z20warp_exchange_kernelILj128ELj16ELj16ELN6hipcub21WarpExchangeAlgorithmE1E18BlockedToStripedOpiEvPT4_: ; @_Z20warp_exchange_kernelILj128ELj16ELj16ELN6hipcub21WarpExchangeAlgorithmE1E18BlockedToStripedOpiEvPT4_
; %bb.0:
	s_load_b64 s[0:1], s[0:1], 0x4
	v_mbcnt_lo_u32_b32 v17, -1, 0
	v_bfe_u32 v9, v0, 10, 10
	v_and_b32_e32 v18, 0x3ff, v0
	v_bfe_u32 v0, v0, 20, 10
	s_delay_alu instid0(VALU_DEP_4) | instskip(SKIP_2) | instid1(VALU_DEP_3)
	v_dual_mov_b32 v10, 9 :: v_dual_and_b32 v19, 8, v17
	v_dual_mov_b32 v1, 0 :: v_dual_mov_b32 v2, 1
	v_dual_mov_b32 v3, 2 :: v_dual_mov_b32 v4, 3
	v_dual_mov_b32 v11, 10 :: v_dual_lshlrev_b32 v12, 2, v19
	v_dual_mov_b32 v5, 4 :: v_dual_mov_b32 v6, 5
	v_dual_mov_b32 v7, 6 :: v_dual_mov_b32 v8, 7
	s_delay_alu instid0(VALU_DEP_3)
	v_xor_b32_e32 v16, 32, v12
	v_mov_b32_e32 v12, 11
	v_cmp_eq_u32_e32 vcc_lo, 0, v19
	s_waitcnt lgkmcnt(0)
	v_mul_u32_u24_e32 v9, s1, v9
	s_lshr_b32 s0, s0, 16
	v_dual_mov_b32 v14, 13 :: v_dual_mov_b32 v15, 14
	s_mul_i32 s0, s0, s1
	s_delay_alu instid0(VALU_DEP_2) | instid1(SALU_CYCLE_1)
	v_mad_u32_u24 v13, s0, v18, v9
	v_mov_b32_e32 v9, 8
	s_delay_alu instid0(VALU_DEP_2)
	v_add_lshl_u32 v20, v13, v0, 6
	v_mov_b32_e32 v13, 12
	ds_store_b128 v20, v[1:4]
	ds_store_b128 v20, v[5:8] offset:16
	ds_store_b128 v20, v[9:12] offset:32
	v_or_b32_e32 v0, v20, v16
	v_cndmask_b32_e64 v3, 4, 36, vcc_lo
	v_mov_b32_e32 v16, 15
	v_and_b32_e32 v4, 4, v17
	v_cndmask_b32_e64 v6, 24, 56, vcc_lo
	ds_load_b32 v2, v0
	v_or_b32_e32 v3, v20, v3
	v_cmp_eq_u32_e64 s0, 0, v4
	v_or_b32_e32 v6, v20, v6
	s_delay_alu instid0(VALU_DEP_2) | instskip(SKIP_1) | instid1(VALU_DEP_2)
	v_cndmask_b32_e64 v7, 12, 28, s0
	v_cndmask_b32_e64 v8, 36, 52, s0
	v_or_b32_e32 v7, v20, v7
	s_delay_alu instid0(VALU_DEP_2)
	v_or_b32_e32 v8, v20, v8
	s_waitcnt lgkmcnt(0)
	ds_swizzle_b32 v2, v2 offset:swizzle(SWAP,8)
	s_waitcnt lgkmcnt(0)
	ds_store_b32 v0, v2
	ds_load_b32 v0, v3
	v_cndmask_b32_e64 v2, 8, 40, vcc_lo
	s_delay_alu instid0(VALU_DEP_1)
	v_or_b32_e32 v2, v20, v2
	s_waitcnt lgkmcnt(0)
	ds_swizzle_b32 v0, v0 offset:swizzle(SWAP,8)
	s_waitcnt lgkmcnt(0)
	ds_store_b32 v3, v0
	ds_load_b32 v0, v2
	v_cndmask_b32_e64 v3, 12, 44, vcc_lo
	s_delay_alu instid0(VALU_DEP_1)
	;; [unrolled: 8-line block ×3, first 2 shown]
	v_or_b32_e32 v2, v20, v2
	s_waitcnt lgkmcnt(0)
	ds_swizzle_b32 v0, v0 offset:swizzle(SWAP,8)
	ds_store_b128 v20, v[13:16] offset:48
	s_waitcnt lgkmcnt(1)
	ds_store_b32 v3, v0
	ds_load_b32 v0, v2
	v_cndmask_b32_e64 v3, 20, 52, vcc_lo
	s_delay_alu instid0(VALU_DEP_1)
	v_or_b32_e32 v3, v20, v3
	s_waitcnt lgkmcnt(0)
	ds_swizzle_b32 v0, v0 offset:swizzle(SWAP,8)
	s_waitcnt lgkmcnt(0)
	ds_store_b32 v2, v0
	ds_load_b32 v0, v3
	v_lshlrev_b32_e32 v2, 2, v4
	v_cndmask_b32_e64 v4, 28, 60, vcc_lo
	s_delay_alu instid0(VALU_DEP_2) | instskip(NEXT) | instid1(VALU_DEP_2)
	v_xor_b32_e32 v2, 16, v2
	v_or_b32_e32 v4, v20, v4
	s_delay_alu instid0(VALU_DEP_2)
	v_or_b32_e32 v2, v20, v2
	ds_load_b32 v5, v2
	s_waitcnt lgkmcnt(1)
	ds_swizzle_b32 v0, v0 offset:swizzle(SWAP,8)
	s_waitcnt lgkmcnt(1)
	ds_swizzle_b32 v5, v5 offset:swizzle(SWAP,4)
	s_waitcnt lgkmcnt(1)
	ds_store_b32 v3, v0
	ds_load_b32 v0, v6
	v_cndmask_b32_e64 v3, 4, 20, s0
	s_delay_alu instid0(VALU_DEP_1)
	v_or_b32_e32 v3, v20, v3
	s_waitcnt lgkmcnt(2)
	ds_store_b32 v2, v5
	ds_load_b32 v2, v3
	v_cndmask_b32_e64 v5, 8, 24, s0
	s_waitcnt lgkmcnt(2)
	ds_swizzle_b32 v0, v0 offset:swizzle(SWAP,8)
	v_or_b32_e32 v5, v20, v5
	s_waitcnt lgkmcnt(0)
	ds_store_b32 v6, v0
	ds_load_b32 v0, v4
	ds_swizzle_b32 v2, v2 offset:swizzle(SWAP,4)
	v_and_b32_e32 v6, 2, v17
	s_delay_alu instid0(VALU_DEP_1) | instskip(SKIP_2) | instid1(VALU_DEP_2)
	v_cmp_eq_u32_e32 vcc_lo, 0, v6
	v_cndmask_b32_e64 v9, 32, 40, vcc_lo
	v_cndmask_b32_e64 v11, 48, 56, vcc_lo
	v_or_b32_e32 v9, v20, v9
	s_delay_alu instid0(VALU_DEP_2)
	v_or_b32_e32 v11, v20, v11
	s_waitcnt lgkmcnt(1)
	ds_swizzle_b32 v0, v0 offset:swizzle(SWAP,8)
	s_waitcnt lgkmcnt(1)
	ds_store_b32 v3, v2
	v_cndmask_b32_e64 v3, 32, 48, s0
	ds_load_b32 v2, v5
	v_or_b32_e32 v3, v20, v3
	s_waitcnt lgkmcnt(2)
	ds_store_b32 v4, v0
	ds_load_b32 v0, v3
	v_lshlrev_b32_e32 v4, 2, v6
	s_waitcnt lgkmcnt(2)
	ds_swizzle_b32 v2, v2 offset:swizzle(SWAP,4)
	v_xor_b32_e32 v4, 8, v4
	s_delay_alu instid0(VALU_DEP_1)
	v_or_b32_e32 v4, v20, v4
	s_waitcnt lgkmcnt(1)
	ds_swizzle_b32 v0, v0 offset:swizzle(SWAP,4)
	s_waitcnt lgkmcnt(1)
	ds_store_b32 v5, v2
	ds_load_b32 v2, v7
	ds_load_b32 v5, v4
	s_waitcnt lgkmcnt(3)
	ds_store_b32 v3, v0
	ds_load_b32 v0, v8
	s_waitcnt lgkmcnt(3)
	ds_swizzle_b32 v2, v2 offset:swizzle(SWAP,4)
	s_waitcnt lgkmcnt(3)
	ds_swizzle_b32 v5, v5 offset:swizzle(SWAP,2)
	v_cndmask_b32_e64 v3, 4, 12, vcc_lo
	s_waitcnt lgkmcnt(1)
	ds_store_b32 v7, v2
	s_waitcnt lgkmcnt(1)
	ds_store_b32 v4, v5
	ds_swizzle_b32 v0, v0 offset:swizzle(SWAP,4)
	v_or_b32_e32 v3, v20, v3
	v_cndmask_b32_e64 v4, 40, 56, s0
	v_cndmask_b32_e64 v7, 16, 24, vcc_lo
	v_and_b32_e32 v5, 1, v17
	v_mov_b32_e32 v17, v1
	ds_load_b32 v2, v3
	v_or_b32_e32 v4, v20, v4
	v_or_b32_e32 v7, v20, v7
	v_lshlrev_b32_e32 v6, 2, v5
	s_delay_alu instid0(VALU_DEP_1) | instskip(NEXT) | instid1(VALU_DEP_1)
	v_xor_b32_e32 v6, 4, v6
	v_or_b32_e32 v6, v20, v6
	s_waitcnt lgkmcnt(1)
	ds_store_b32 v8, v0
	ds_load_b32 v0, v4
	ds_load_b32 v8, v7
	s_waitcnt lgkmcnt(3)
	ds_swizzle_b32 v2, v2 offset:swizzle(SWAP,2)
	s_waitcnt lgkmcnt(2)
	ds_swizzle_b32 v0, v0 offset:swizzle(SWAP,4)
	;; [unrolled: 2-line block ×3, first 2 shown]
	s_waitcnt lgkmcnt(2)
	ds_store_b32 v3, v2
	v_cndmask_b32_e64 v3, 44, 60, s0
	ds_load_b32 v2, v6
	v_cmp_eq_u32_e64 s0, 0, v5
	v_or_b32_e32 v3, v20, v3
	s_delay_alu instid0(VALU_DEP_2)
	v_cndmask_b32_e64 v5, 8, 12, s0
	v_cndmask_b32_e64 v12, 16, 20, s0
	;; [unrolled: 1-line block ×5, first 2 shown]
	v_or_b32_e32 v5, v20, v5
	v_or_b32_e32 v12, v20, v12
	s_waitcnt lgkmcnt(3)
	ds_store_b32 v4, v0
	s_waitcnt lgkmcnt(3)
	ds_store_b32 v7, v8
	ds_load_b32 v0, v3
	v_cndmask_b32_e64 v4, 20, 28, vcc_lo
	v_or_b32_e32 v15, v20, v15
	v_or_b32_e32 v13, v20, v13
	;; [unrolled: 1-line block ×3, first 2 shown]
	s_waitcnt lgkmcnt(3)
	ds_swizzle_b32 v2, v2 offset:swizzle(SWAP,1)
	v_or_b32_e32 v4, v20, v4
	ds_load_b32 v7, v9
	ds_load_b32 v8, v4
	;; [unrolled: 1-line block ×3, first 2 shown]
	s_waitcnt lgkmcnt(4)
	ds_swizzle_b32 v0, v0 offset:swizzle(SWAP,4)
	s_waitcnt lgkmcnt(3)
	ds_swizzle_b32 v7, v7 offset:swizzle(SWAP,2)
	;; [unrolled: 2-line block ×4, first 2 shown]
	s_waitcnt lgkmcnt(3)
	ds_store_b32 v3, v0
	ds_load_b32 v0, v11
	v_cndmask_b32_e64 v3, 36, 44, vcc_lo
	s_delay_alu instid0(VALU_DEP_1)
	v_or_b32_e32 v3, v20, v3
	s_waitcnt lgkmcnt(3)
	ds_store_b32 v4, v8
	v_cndmask_b32_e64 v8, 52, 60, vcc_lo
	ds_load_b32 v4, v12
	v_or_b32_e32 v8, v20, v8
	s_waitcnt lgkmcnt(2)
	ds_swizzle_b32 v0, v0 offset:swizzle(SWAP,2)
	ds_store_b32 v9, v7
	ds_load_b32 v7, v3
	v_cndmask_b32_e64 v9, 24, 28, s0
	s_delay_alu instid0(VALU_DEP_1)
	v_or_b32_e32 v9, v20, v9
	s_waitcnt lgkmcnt(2)
	ds_store_b32 v11, v0
	ds_load_b32 v0, v8
	s_waitcnt lgkmcnt(2)
	ds_swizzle_b32 v7, v7 offset:swizzle(SWAP,2)
	v_cndmask_b32_e64 v11, 32, 36, s0
	ds_swizzle_b32 v4, v4 offset:swizzle(SWAP,1)
	s_load_b64 s[0:1], s[2:3], 0x0
	v_or_b32_e32 v11, v20, v11
	s_waitcnt lgkmcnt(0)
	ds_swizzle_b32 v0, v0 offset:swizzle(SWAP,2)
	ds_store_b32 v3, v7
	ds_load_b32 v3, v9
	ds_load_b32 v7, v11
	;; [unrolled: 1-line block ×3, first 2 shown]
	s_waitcnt lgkmcnt(2)
	ds_swizzle_b32 v3, v3 offset:swizzle(SWAP,1)
	ds_store_b32 v8, v0
	ds_load_b32 v0, v15
	ds_load_b32 v8, v19
	s_waitcnt lgkmcnt(5)
	ds_swizzle_b32 v7, v7 offset:swizzle(SWAP,1)
	s_waitcnt lgkmcnt(5)
	ds_swizzle_b32 v14, v14 offset:swizzle(SWAP,1)
	ds_store_b32 v6, v2
	s_waitcnt lgkmcnt(2)
	ds_store_b32 v11, v7
	ds_store_b32 v5, v10
	s_waitcnt lgkmcnt(3)
	ds_store_b32 v13, v14
	ds_store_b32 v12, v4
	;; [unrolled: 1-line block ×3, first 2 shown]
	ds_swizzle_b32 v21, v0 offset:swizzle(SWAP,1)
	ds_swizzle_b32 v8, v8 offset:swizzle(SWAP,1)
	v_lshlrev_b32_e32 v0, 4, v18
	s_delay_alu instid0(VALU_DEP_1)
	v_lshl_or_b32 v16, s15, 11, v0
	ds_load_b128 v[0:3], v20
	ds_load_b128 v[4:7], v20 offset:16
	s_waitcnt lgkmcnt(3)
	ds_store_b32 v15, v21
	s_waitcnt lgkmcnt(3)
	ds_store_b32 v19, v8
	ds_load_b128 v[8:11], v20 offset:32
	ds_load_b128 v[12:15], v20 offset:48
	v_lshlrev_b64 v[16:17], 2, v[16:17]
	s_delay_alu instid0(VALU_DEP_1) | instskip(NEXT) | instid1(VALU_DEP_2)
	v_add_co_u32 v16, vcc_lo, s0, v16
	v_add_co_ci_u32_e32 v17, vcc_lo, s1, v17, vcc_lo
	s_waitcnt lgkmcnt(5)
	global_store_b128 v[16:17], v[0:3], off
	s_waitcnt lgkmcnt(4)
	global_store_b128 v[16:17], v[4:7], off offset:16
	s_waitcnt lgkmcnt(1)
	global_store_b128 v[16:17], v[8:11], off offset:32
	;; [unrolled: 2-line block ×3, first 2 shown]
	s_nop 0
	s_sendmsg sendmsg(MSG_DEALLOC_VGPRS)
	s_endpgm
	.section	.rodata,"a",@progbits
	.p2align	6, 0x0
	.amdhsa_kernel _Z20warp_exchange_kernelILj128ELj16ELj16ELN6hipcub21WarpExchangeAlgorithmE1E18BlockedToStripedOpiEvPT4_
		.amdhsa_group_segment_fixed_size 8192
		.amdhsa_private_segment_fixed_size 0
		.amdhsa_kernarg_size 8
		.amdhsa_user_sgpr_count 15
		.amdhsa_user_sgpr_dispatch_ptr 1
		.amdhsa_user_sgpr_queue_ptr 0
		.amdhsa_user_sgpr_kernarg_segment_ptr 1
		.amdhsa_user_sgpr_dispatch_id 0
		.amdhsa_user_sgpr_private_segment_size 0
		.amdhsa_wavefront_size32 1
		.amdhsa_uses_dynamic_stack 0
		.amdhsa_enable_private_segment 0
		.amdhsa_system_sgpr_workgroup_id_x 1
		.amdhsa_system_sgpr_workgroup_id_y 0
		.amdhsa_system_sgpr_workgroup_id_z 0
		.amdhsa_system_sgpr_workgroup_info 0
		.amdhsa_system_vgpr_workitem_id 2
		.amdhsa_next_free_vgpr 22
		.amdhsa_next_free_sgpr 16
		.amdhsa_reserve_vcc 1
		.amdhsa_float_round_mode_32 0
		.amdhsa_float_round_mode_16_64 0
		.amdhsa_float_denorm_mode_32 3
		.amdhsa_float_denorm_mode_16_64 3
		.amdhsa_dx10_clamp 1
		.amdhsa_ieee_mode 1
		.amdhsa_fp16_overflow 0
		.amdhsa_workgroup_processor_mode 1
		.amdhsa_memory_ordered 1
		.amdhsa_forward_progress 0
		.amdhsa_shared_vgpr_count 0
		.amdhsa_exception_fp_ieee_invalid_op 0
		.amdhsa_exception_fp_denorm_src 0
		.amdhsa_exception_fp_ieee_div_zero 0
		.amdhsa_exception_fp_ieee_overflow 0
		.amdhsa_exception_fp_ieee_underflow 0
		.amdhsa_exception_fp_ieee_inexact 0
		.amdhsa_exception_int_div_zero 0
	.end_amdhsa_kernel
	.section	.text._Z20warp_exchange_kernelILj128ELj16ELj16ELN6hipcub21WarpExchangeAlgorithmE1E18BlockedToStripedOpiEvPT4_,"axG",@progbits,_Z20warp_exchange_kernelILj128ELj16ELj16ELN6hipcub21WarpExchangeAlgorithmE1E18BlockedToStripedOpiEvPT4_,comdat
.Lfunc_end12:
	.size	_Z20warp_exchange_kernelILj128ELj16ELj16ELN6hipcub21WarpExchangeAlgorithmE1E18BlockedToStripedOpiEvPT4_, .Lfunc_end12-_Z20warp_exchange_kernelILj128ELj16ELj16ELN6hipcub21WarpExchangeAlgorithmE1E18BlockedToStripedOpiEvPT4_
                                        ; -- End function
	.section	.AMDGPU.csdata,"",@progbits
; Kernel info:
; codeLenInByte = 1792
; NumSgprs: 18
; NumVgprs: 22
; ScratchSize: 0
; MemoryBound: 0
; FloatMode: 240
; IeeeMode: 1
; LDSByteSize: 8192 bytes/workgroup (compile time only)
; SGPRBlocks: 2
; VGPRBlocks: 2
; NumSGPRsForWavesPerEU: 18
; NumVGPRsForWavesPerEU: 22
; Occupancy: 16
; WaveLimiterHint : 0
; COMPUTE_PGM_RSRC2:SCRATCH_EN: 0
; COMPUTE_PGM_RSRC2:USER_SGPR: 15
; COMPUTE_PGM_RSRC2:TRAP_HANDLER: 0
; COMPUTE_PGM_RSRC2:TGID_X_EN: 1
; COMPUTE_PGM_RSRC2:TGID_Y_EN: 0
; COMPUTE_PGM_RSRC2:TGID_Z_EN: 0
; COMPUTE_PGM_RSRC2:TIDIG_COMP_CNT: 2
	.section	.text._Z20warp_exchange_kernelILj128ELj4ELj16ELN6hipcub21WarpExchangeAlgorithmE1E18StripedToBlockedOpiEvPT4_,"axG",@progbits,_Z20warp_exchange_kernelILj128ELj4ELj16ELN6hipcub21WarpExchangeAlgorithmE1E18StripedToBlockedOpiEvPT4_,comdat
	.protected	_Z20warp_exchange_kernelILj128ELj4ELj16ELN6hipcub21WarpExchangeAlgorithmE1E18StripedToBlockedOpiEvPT4_ ; -- Begin function _Z20warp_exchange_kernelILj128ELj4ELj16ELN6hipcub21WarpExchangeAlgorithmE1E18StripedToBlockedOpiEvPT4_
	.globl	_Z20warp_exchange_kernelILj128ELj4ELj16ELN6hipcub21WarpExchangeAlgorithmE1E18StripedToBlockedOpiEvPT4_
	.p2align	8
	.type	_Z20warp_exchange_kernelILj128ELj4ELj16ELN6hipcub21WarpExchangeAlgorithmE1E18StripedToBlockedOpiEvPT4_,@function
_Z20warp_exchange_kernelILj128ELj4ELj16ELN6hipcub21WarpExchangeAlgorithmE1E18StripedToBlockedOpiEvPT4_: ; @_Z20warp_exchange_kernelILj128ELj4ELj16ELN6hipcub21WarpExchangeAlgorithmE1E18StripedToBlockedOpiEvPT4_
; %bb.0:
	v_mbcnt_lo_u32_b32 v2, -1, 0
	s_load_b64 s[2:3], s[0:1], 0x0
	v_mov_b32_e32 v4, 1
	v_mov_b32_e32 v6, 3
	v_lshlrev_b32_e32 v0, 2, v0
	v_lshlrev_b32_e32 v1, 2, v2
	v_and_b32_e32 v3, 16, v2
	v_bfe_u32 v2, v2, 2, 2
	s_delay_alu instid0(VALU_DEP_4) | instskip(NEXT) | instid1(VALU_DEP_3)
	v_lshl_or_b32 v0, s15, 9, v0
	v_and_or_b32 v3, v1, 12, v3
	v_mov_b32_e32 v1, 0
	s_delay_alu instid0(VALU_DEP_4) | instskip(SKIP_1) | instid1(VALU_DEP_4)
	v_cmp_eq_u32_e32 vcc_lo, 1, v2
	v_cmp_eq_u32_e64 s0, 2, v2
	v_lshlrev_b32_e32 v3, 2, v3
	ds_bpermute_b32 v7, v3, v1
	ds_bpermute_b32 v8, v3, v4
	ds_bpermute_b32 v11, v3, v1 offset:8
	ds_bpermute_b32 v12, v3, v4 offset:8
	v_mov_b32_e32 v5, 2
	ds_bpermute_b32 v10, v3, v4 offset:4
	ds_bpermute_b32 v13, v3, v1 offset:12
	;; [unrolled: 1-line block ×4, first 2 shown]
	ds_bpermute_b32 v14, v3, v5
	ds_bpermute_b32 v15, v3, v5 offset:4
	ds_bpermute_b32 v16, v3, v5 offset:8
	ds_bpermute_b32 v5, v3, v5 offset:12
	ds_bpermute_b32 v17, v3, v6
	ds_bpermute_b32 v18, v3, v6 offset:4
	ds_bpermute_b32 v19, v3, v6 offset:8
	;; [unrolled: 1-line block ×3, first 2 shown]
	s_waitcnt lgkmcnt(0)
	v_cndmask_b32_e32 v6, v7, v8, vcc_lo
	v_cndmask_b32_e32 v8, v11, v12, vcc_lo
	;; [unrolled: 1-line block ×3, first 2 shown]
	s_delay_alu instid0(VALU_DEP_3)
	v_cndmask_b32_e64 v6, v6, v14, s0
	v_cndmask_b32_e32 v7, v9, v10, vcc_lo
	v_cmp_eq_u32_e32 vcc_lo, 3, v2
	v_cndmask_b32_e64 v2, v8, v16, s0
	v_cndmask_b32_e64 v8, v4, v5, s0
	v_lshlrev_b64 v[4:5], 2, v[0:1]
	v_cndmask_b32_e32 v0, v6, v17, vcc_lo
	v_cndmask_b32_e64 v7, v7, v15, s0
	v_cndmask_b32_e32 v2, v2, v19, vcc_lo
	v_cndmask_b32_e32 v3, v8, v3, vcc_lo
	s_delay_alu instid0(VALU_DEP_3)
	v_cndmask_b32_e32 v1, v7, v18, vcc_lo
	v_add_co_u32 v4, vcc_lo, s2, v4
	v_add_co_ci_u32_e32 v5, vcc_lo, s3, v5, vcc_lo
	global_store_b128 v[4:5], v[0:3], off
	s_nop 0
	s_sendmsg sendmsg(MSG_DEALLOC_VGPRS)
	s_endpgm
	.section	.rodata,"a",@progbits
	.p2align	6, 0x0
	.amdhsa_kernel _Z20warp_exchange_kernelILj128ELj4ELj16ELN6hipcub21WarpExchangeAlgorithmE1E18StripedToBlockedOpiEvPT4_
		.amdhsa_group_segment_fixed_size 0
		.amdhsa_private_segment_fixed_size 0
		.amdhsa_kernarg_size 8
		.amdhsa_user_sgpr_count 15
		.amdhsa_user_sgpr_dispatch_ptr 0
		.amdhsa_user_sgpr_queue_ptr 0
		.amdhsa_user_sgpr_kernarg_segment_ptr 1
		.amdhsa_user_sgpr_dispatch_id 0
		.amdhsa_user_sgpr_private_segment_size 0
		.amdhsa_wavefront_size32 1
		.amdhsa_uses_dynamic_stack 0
		.amdhsa_enable_private_segment 0
		.amdhsa_system_sgpr_workgroup_id_x 1
		.amdhsa_system_sgpr_workgroup_id_y 0
		.amdhsa_system_sgpr_workgroup_id_z 0
		.amdhsa_system_sgpr_workgroup_info 0
		.amdhsa_system_vgpr_workitem_id 0
		.amdhsa_next_free_vgpr 20
		.amdhsa_next_free_sgpr 16
		.amdhsa_reserve_vcc 1
		.amdhsa_float_round_mode_32 0
		.amdhsa_float_round_mode_16_64 0
		.amdhsa_float_denorm_mode_32 3
		.amdhsa_float_denorm_mode_16_64 3
		.amdhsa_dx10_clamp 1
		.amdhsa_ieee_mode 1
		.amdhsa_fp16_overflow 0
		.amdhsa_workgroup_processor_mode 1
		.amdhsa_memory_ordered 1
		.amdhsa_forward_progress 0
		.amdhsa_shared_vgpr_count 0
		.amdhsa_exception_fp_ieee_invalid_op 0
		.amdhsa_exception_fp_denorm_src 0
		.amdhsa_exception_fp_ieee_div_zero 0
		.amdhsa_exception_fp_ieee_overflow 0
		.amdhsa_exception_fp_ieee_underflow 0
		.amdhsa_exception_fp_ieee_inexact 0
		.amdhsa_exception_int_div_zero 0
	.end_amdhsa_kernel
	.section	.text._Z20warp_exchange_kernelILj128ELj4ELj16ELN6hipcub21WarpExchangeAlgorithmE1E18StripedToBlockedOpiEvPT4_,"axG",@progbits,_Z20warp_exchange_kernelILj128ELj4ELj16ELN6hipcub21WarpExchangeAlgorithmE1E18StripedToBlockedOpiEvPT4_,comdat
.Lfunc_end13:
	.size	_Z20warp_exchange_kernelILj128ELj4ELj16ELN6hipcub21WarpExchangeAlgorithmE1E18StripedToBlockedOpiEvPT4_, .Lfunc_end13-_Z20warp_exchange_kernelILj128ELj4ELj16ELN6hipcub21WarpExchangeAlgorithmE1E18StripedToBlockedOpiEvPT4_
                                        ; -- End function
	.section	.AMDGPU.csdata,"",@progbits
; Kernel info:
; codeLenInByte = 340
; NumSgprs: 18
; NumVgprs: 20
; ScratchSize: 0
; MemoryBound: 0
; FloatMode: 240
; IeeeMode: 1
; LDSByteSize: 0 bytes/workgroup (compile time only)
; SGPRBlocks: 2
; VGPRBlocks: 2
; NumSGPRsForWavesPerEU: 18
; NumVGPRsForWavesPerEU: 20
; Occupancy: 16
; WaveLimiterHint : 0
; COMPUTE_PGM_RSRC2:SCRATCH_EN: 0
; COMPUTE_PGM_RSRC2:USER_SGPR: 15
; COMPUTE_PGM_RSRC2:TRAP_HANDLER: 0
; COMPUTE_PGM_RSRC2:TGID_X_EN: 1
; COMPUTE_PGM_RSRC2:TGID_Y_EN: 0
; COMPUTE_PGM_RSRC2:TGID_Z_EN: 0
; COMPUTE_PGM_RSRC2:TIDIG_COMP_CNT: 0
	.section	.text._Z20warp_exchange_kernelILj128ELj4ELj16ELN6hipcub21WarpExchangeAlgorithmE1E18BlockedToStripedOpiEvPT4_,"axG",@progbits,_Z20warp_exchange_kernelILj128ELj4ELj16ELN6hipcub21WarpExchangeAlgorithmE1E18BlockedToStripedOpiEvPT4_,comdat
	.protected	_Z20warp_exchange_kernelILj128ELj4ELj16ELN6hipcub21WarpExchangeAlgorithmE1E18BlockedToStripedOpiEvPT4_ ; -- Begin function _Z20warp_exchange_kernelILj128ELj4ELj16ELN6hipcub21WarpExchangeAlgorithmE1E18BlockedToStripedOpiEvPT4_
	.globl	_Z20warp_exchange_kernelILj128ELj4ELj16ELN6hipcub21WarpExchangeAlgorithmE1E18BlockedToStripedOpiEvPT4_
	.p2align	8
	.type	_Z20warp_exchange_kernelILj128ELj4ELj16ELN6hipcub21WarpExchangeAlgorithmE1E18BlockedToStripedOpiEvPT4_,@function
_Z20warp_exchange_kernelILj128ELj4ELj16ELN6hipcub21WarpExchangeAlgorithmE1E18BlockedToStripedOpiEvPT4_: ; @_Z20warp_exchange_kernelILj128ELj4ELj16ELN6hipcub21WarpExchangeAlgorithmE1E18BlockedToStripedOpiEvPT4_
; %bb.0:
	v_mbcnt_lo_u32_b32 v2, -1, 0
	v_dual_mov_b32 v5, 3 :: v_dual_mov_b32 v6, 2
	s_load_b64 s[2:3], s[0:1], 0x0
	v_mov_b32_e32 v1, 0
	s_delay_alu instid0(VALU_DEP_3) | instskip(SKIP_1) | instid1(VALU_DEP_1)
	v_lshlrev_b32_e32 v3, 2, v2
	v_and_b32_e32 v4, 12, v2
	v_and_or_b32 v3, v3, 64, v4
	v_mov_b32_e32 v4, 1
	ds_bpermute_b32 v7, v3, v1
	ds_bpermute_b32 v8, v3, v4
	ds_bpermute_b32 v9, v3, v1 offset:16
	ds_bpermute_b32 v10, v3, v4 offset:16
	;; [unrolled: 1-line block ×7, first 2 shown]
	ds_bpermute_b32 v14, v3, v6
	ds_bpermute_b32 v16, v3, v6 offset:32
	ds_bpermute_b32 v6, v3, v6 offset:48
	v_and_b32_e32 v2, 3, v2
	ds_bpermute_b32 v17, v3, v5
	ds_bpermute_b32 v18, v3, v5 offset:16
	ds_bpermute_b32 v19, v3, v5 offset:32
	;; [unrolled: 1-line block ×3, first 2 shown]
	v_cmp_eq_u32_e32 vcc_lo, 1, v2
	v_lshlrev_b32_e32 v0, 2, v0
	s_waitcnt lgkmcnt(0)
	v_cndmask_b32_e32 v5, v7, v8, vcc_lo
	v_cndmask_b32_e32 v7, v9, v10, vcc_lo
	v_cmp_eq_u32_e64 s0, 2, v2
	v_lshl_or_b32 v0, s15, 9, v0
	s_delay_alu instid0(VALU_DEP_2) | instskip(SKIP_2) | instid1(VALU_DEP_2)
	v_cndmask_b32_e64 v7, v7, v15, s0
	v_cndmask_b32_e32 v4, v13, v4, vcc_lo
	v_cndmask_b32_e64 v9, v5, v14, s0
	v_cndmask_b32_e64 v6, v4, v6, s0
	v_cndmask_b32_e32 v8, v11, v12, vcc_lo
	v_cmp_eq_u32_e32 vcc_lo, 3, v2
	v_lshlrev_b64 v[4:5], 2, v[0:1]
	s_delay_alu instid0(VALU_DEP_4) | instskip(NEXT) | instid1(VALU_DEP_4)
	v_cndmask_b32_e32 v3, v6, v3, vcc_lo
	v_cndmask_b32_e64 v2, v8, v16, s0
	v_dual_cndmask_b32 v0, v9, v17 :: v_dual_cndmask_b32 v1, v7, v18
	s_delay_alu instid0(VALU_DEP_2)
	v_cndmask_b32_e32 v2, v2, v19, vcc_lo
	v_add_co_u32 v4, vcc_lo, s2, v4
	v_add_co_ci_u32_e32 v5, vcc_lo, s3, v5, vcc_lo
	global_store_b128 v[4:5], v[0:3], off
	s_nop 0
	s_sendmsg sendmsg(MSG_DEALLOC_VGPRS)
	s_endpgm
	.section	.rodata,"a",@progbits
	.p2align	6, 0x0
	.amdhsa_kernel _Z20warp_exchange_kernelILj128ELj4ELj16ELN6hipcub21WarpExchangeAlgorithmE1E18BlockedToStripedOpiEvPT4_
		.amdhsa_group_segment_fixed_size 0
		.amdhsa_private_segment_fixed_size 0
		.amdhsa_kernarg_size 8
		.amdhsa_user_sgpr_count 15
		.amdhsa_user_sgpr_dispatch_ptr 0
		.amdhsa_user_sgpr_queue_ptr 0
		.amdhsa_user_sgpr_kernarg_segment_ptr 1
		.amdhsa_user_sgpr_dispatch_id 0
		.amdhsa_user_sgpr_private_segment_size 0
		.amdhsa_wavefront_size32 1
		.amdhsa_uses_dynamic_stack 0
		.amdhsa_enable_private_segment 0
		.amdhsa_system_sgpr_workgroup_id_x 1
		.amdhsa_system_sgpr_workgroup_id_y 0
		.amdhsa_system_sgpr_workgroup_id_z 0
		.amdhsa_system_sgpr_workgroup_info 0
		.amdhsa_system_vgpr_workitem_id 0
		.amdhsa_next_free_vgpr 20
		.amdhsa_next_free_sgpr 16
		.amdhsa_reserve_vcc 1
		.amdhsa_float_round_mode_32 0
		.amdhsa_float_round_mode_16_64 0
		.amdhsa_float_denorm_mode_32 3
		.amdhsa_float_denorm_mode_16_64 3
		.amdhsa_dx10_clamp 1
		.amdhsa_ieee_mode 1
		.amdhsa_fp16_overflow 0
		.amdhsa_workgroup_processor_mode 1
		.amdhsa_memory_ordered 1
		.amdhsa_forward_progress 0
		.amdhsa_shared_vgpr_count 0
		.amdhsa_exception_fp_ieee_invalid_op 0
		.amdhsa_exception_fp_denorm_src 0
		.amdhsa_exception_fp_ieee_div_zero 0
		.amdhsa_exception_fp_ieee_overflow 0
		.amdhsa_exception_fp_ieee_underflow 0
		.amdhsa_exception_fp_ieee_inexact 0
		.amdhsa_exception_int_div_zero 0
	.end_amdhsa_kernel
	.section	.text._Z20warp_exchange_kernelILj128ELj4ELj16ELN6hipcub21WarpExchangeAlgorithmE1E18BlockedToStripedOpiEvPT4_,"axG",@progbits,_Z20warp_exchange_kernelILj128ELj4ELj16ELN6hipcub21WarpExchangeAlgorithmE1E18BlockedToStripedOpiEvPT4_,comdat
.Lfunc_end14:
	.size	_Z20warp_exchange_kernelILj128ELj4ELj16ELN6hipcub21WarpExchangeAlgorithmE1E18BlockedToStripedOpiEvPT4_, .Lfunc_end14-_Z20warp_exchange_kernelILj128ELj4ELj16ELN6hipcub21WarpExchangeAlgorithmE1E18BlockedToStripedOpiEvPT4_
                                        ; -- End function
	.section	.AMDGPU.csdata,"",@progbits
; Kernel info:
; codeLenInByte = 332
; NumSgprs: 18
; NumVgprs: 20
; ScratchSize: 0
; MemoryBound: 0
; FloatMode: 240
; IeeeMode: 1
; LDSByteSize: 0 bytes/workgroup (compile time only)
; SGPRBlocks: 2
; VGPRBlocks: 2
; NumSGPRsForWavesPerEU: 18
; NumVGPRsForWavesPerEU: 20
; Occupancy: 16
; WaveLimiterHint : 0
; COMPUTE_PGM_RSRC2:SCRATCH_EN: 0
; COMPUTE_PGM_RSRC2:USER_SGPR: 15
; COMPUTE_PGM_RSRC2:TRAP_HANDLER: 0
; COMPUTE_PGM_RSRC2:TGID_X_EN: 1
; COMPUTE_PGM_RSRC2:TGID_Y_EN: 0
; COMPUTE_PGM_RSRC2:TGID_Z_EN: 0
; COMPUTE_PGM_RSRC2:TIDIG_COMP_CNT: 0
	.section	.text._Z20warp_exchange_kernelILj128ELj4ELj32ELN6hipcub21WarpExchangeAlgorithmE1E18StripedToBlockedOpiEvPT4_,"axG",@progbits,_Z20warp_exchange_kernelILj128ELj4ELj32ELN6hipcub21WarpExchangeAlgorithmE1E18StripedToBlockedOpiEvPT4_,comdat
	.protected	_Z20warp_exchange_kernelILj128ELj4ELj32ELN6hipcub21WarpExchangeAlgorithmE1E18StripedToBlockedOpiEvPT4_ ; -- Begin function _Z20warp_exchange_kernelILj128ELj4ELj32ELN6hipcub21WarpExchangeAlgorithmE1E18StripedToBlockedOpiEvPT4_
	.globl	_Z20warp_exchange_kernelILj128ELj4ELj32ELN6hipcub21WarpExchangeAlgorithmE1E18StripedToBlockedOpiEvPT4_
	.p2align	8
	.type	_Z20warp_exchange_kernelILj128ELj4ELj32ELN6hipcub21WarpExchangeAlgorithmE1E18StripedToBlockedOpiEvPT4_,@function
_Z20warp_exchange_kernelILj128ELj4ELj32ELN6hipcub21WarpExchangeAlgorithmE1E18StripedToBlockedOpiEvPT4_: ; @_Z20warp_exchange_kernelILj128ELj4ELj32ELN6hipcub21WarpExchangeAlgorithmE1E18StripedToBlockedOpiEvPT4_
; %bb.0:
	v_mbcnt_lo_u32_b32 v2, -1, 0
	v_dual_mov_b32 v1, 0 :: v_dual_mov_b32 v6, 2
	v_dual_mov_b32 v5, 3 :: v_dual_lshlrev_b32 v0, 2, v0
	s_delay_alu instid0(VALU_DEP_3) | instskip(SKIP_2) | instid1(VALU_DEP_3)
	v_dual_mov_b32 v4, 1 :: v_dual_lshlrev_b32 v3, 4, v2
	v_lshrrev_b32_e32 v2, 3, v2
	s_load_b64 s[2:3], s[0:1], 0x0
	v_lshl_or_b32 v0, s15, 9, v0
	s_delay_alu instid0(VALU_DEP_2)
	v_cmp_eq_u32_e32 vcc_lo, 1, v2
	v_and_b32_e32 v3, 0x70, v3
	v_cmp_eq_u32_e64 s0, 2, v2
	ds_bpermute_b32 v7, v3, v1
	ds_bpermute_b32 v8, v3, v4
	ds_bpermute_b32 v11, v3, v1 offset:8
	ds_bpermute_b32 v12, v3, v4 offset:8
	;; [unrolled: 1-line block ×7, first 2 shown]
	ds_bpermute_b32 v14, v3, v6
	ds_bpermute_b32 v15, v3, v6 offset:4
	ds_bpermute_b32 v6, v3, v6 offset:12
	;; [unrolled: 1-line block ×3, first 2 shown]
	ds_bpermute_b32 v17, v3, v5
	ds_bpermute_b32 v18, v3, v5 offset:4
	ds_bpermute_b32 v3, v3, v5 offset:12
	s_waitcnt lgkmcnt(0)
	v_cndmask_b32_e32 v5, v7, v8, vcc_lo
	v_cndmask_b32_e32 v8, v11, v12, vcc_lo
	;; [unrolled: 1-line block ×4, first 2 shown]
	v_cmp_eq_u32_e32 vcc_lo, 3, v2
	s_delay_alu instid0(VALU_DEP_4) | instskip(SKIP_3) | instid1(VALU_DEP_4)
	v_cndmask_b32_e64 v2, v8, v16, s0
	v_cndmask_b32_e64 v9, v5, v14, s0
	;; [unrolled: 1-line block ×3, first 2 shown]
	v_lshlrev_b64 v[4:5], 2, v[0:1]
	v_cndmask_b32_e32 v2, v2, v19, vcc_lo
	v_cndmask_b32_e64 v7, v7, v15, s0
	s_delay_alu instid0(VALU_DEP_4) | instskip(NEXT) | instid1(VALU_DEP_2)
	v_dual_cndmask_b32 v0, v9, v17 :: v_dual_cndmask_b32 v3, v6, v3
	v_cndmask_b32_e32 v1, v7, v18, vcc_lo
	v_add_co_u32 v4, vcc_lo, s2, v4
	v_add_co_ci_u32_e32 v5, vcc_lo, s3, v5, vcc_lo
	global_store_b128 v[4:5], v[0:3], off
	s_nop 0
	s_sendmsg sendmsg(MSG_DEALLOC_VGPRS)
	s_endpgm
	.section	.rodata,"a",@progbits
	.p2align	6, 0x0
	.amdhsa_kernel _Z20warp_exchange_kernelILj128ELj4ELj32ELN6hipcub21WarpExchangeAlgorithmE1E18StripedToBlockedOpiEvPT4_
		.amdhsa_group_segment_fixed_size 0
		.amdhsa_private_segment_fixed_size 0
		.amdhsa_kernarg_size 8
		.amdhsa_user_sgpr_count 15
		.amdhsa_user_sgpr_dispatch_ptr 0
		.amdhsa_user_sgpr_queue_ptr 0
		.amdhsa_user_sgpr_kernarg_segment_ptr 1
		.amdhsa_user_sgpr_dispatch_id 0
		.amdhsa_user_sgpr_private_segment_size 0
		.amdhsa_wavefront_size32 1
		.amdhsa_uses_dynamic_stack 0
		.amdhsa_enable_private_segment 0
		.amdhsa_system_sgpr_workgroup_id_x 1
		.amdhsa_system_sgpr_workgroup_id_y 0
		.amdhsa_system_sgpr_workgroup_id_z 0
		.amdhsa_system_sgpr_workgroup_info 0
		.amdhsa_system_vgpr_workitem_id 0
		.amdhsa_next_free_vgpr 20
		.amdhsa_next_free_sgpr 16
		.amdhsa_reserve_vcc 1
		.amdhsa_float_round_mode_32 0
		.amdhsa_float_round_mode_16_64 0
		.amdhsa_float_denorm_mode_32 3
		.amdhsa_float_denorm_mode_16_64 3
		.amdhsa_dx10_clamp 1
		.amdhsa_ieee_mode 1
		.amdhsa_fp16_overflow 0
		.amdhsa_workgroup_processor_mode 1
		.amdhsa_memory_ordered 1
		.amdhsa_forward_progress 0
		.amdhsa_shared_vgpr_count 0
		.amdhsa_exception_fp_ieee_invalid_op 0
		.amdhsa_exception_fp_denorm_src 0
		.amdhsa_exception_fp_ieee_div_zero 0
		.amdhsa_exception_fp_ieee_overflow 0
		.amdhsa_exception_fp_ieee_underflow 0
		.amdhsa_exception_fp_ieee_inexact 0
		.amdhsa_exception_int_div_zero 0
	.end_amdhsa_kernel
	.section	.text._Z20warp_exchange_kernelILj128ELj4ELj32ELN6hipcub21WarpExchangeAlgorithmE1E18StripedToBlockedOpiEvPT4_,"axG",@progbits,_Z20warp_exchange_kernelILj128ELj4ELj32ELN6hipcub21WarpExchangeAlgorithmE1E18StripedToBlockedOpiEvPT4_,comdat
.Lfunc_end15:
	.size	_Z20warp_exchange_kernelILj128ELj4ELj32ELN6hipcub21WarpExchangeAlgorithmE1E18StripedToBlockedOpiEvPT4_, .Lfunc_end15-_Z20warp_exchange_kernelILj128ELj4ELj32ELN6hipcub21WarpExchangeAlgorithmE1E18StripedToBlockedOpiEvPT4_
                                        ; -- End function
	.section	.AMDGPU.csdata,"",@progbits
; Kernel info:
; codeLenInByte = 328
; NumSgprs: 18
; NumVgprs: 20
; ScratchSize: 0
; MemoryBound: 0
; FloatMode: 240
; IeeeMode: 1
; LDSByteSize: 0 bytes/workgroup (compile time only)
; SGPRBlocks: 2
; VGPRBlocks: 2
; NumSGPRsForWavesPerEU: 18
; NumVGPRsForWavesPerEU: 20
; Occupancy: 16
; WaveLimiterHint : 0
; COMPUTE_PGM_RSRC2:SCRATCH_EN: 0
; COMPUTE_PGM_RSRC2:USER_SGPR: 15
; COMPUTE_PGM_RSRC2:TRAP_HANDLER: 0
; COMPUTE_PGM_RSRC2:TGID_X_EN: 1
; COMPUTE_PGM_RSRC2:TGID_Y_EN: 0
; COMPUTE_PGM_RSRC2:TGID_Z_EN: 0
; COMPUTE_PGM_RSRC2:TIDIG_COMP_CNT: 0
	.section	.text._Z20warp_exchange_kernelILj128ELj4ELj32ELN6hipcub21WarpExchangeAlgorithmE1E18BlockedToStripedOpiEvPT4_,"axG",@progbits,_Z20warp_exchange_kernelILj128ELj4ELj32ELN6hipcub21WarpExchangeAlgorithmE1E18BlockedToStripedOpiEvPT4_,comdat
	.protected	_Z20warp_exchange_kernelILj128ELj4ELj32ELN6hipcub21WarpExchangeAlgorithmE1E18BlockedToStripedOpiEvPT4_ ; -- Begin function _Z20warp_exchange_kernelILj128ELj4ELj32ELN6hipcub21WarpExchangeAlgorithmE1E18BlockedToStripedOpiEvPT4_
	.globl	_Z20warp_exchange_kernelILj128ELj4ELj32ELN6hipcub21WarpExchangeAlgorithmE1E18BlockedToStripedOpiEvPT4_
	.p2align	8
	.type	_Z20warp_exchange_kernelILj128ELj4ELj32ELN6hipcub21WarpExchangeAlgorithmE1E18BlockedToStripedOpiEvPT4_,@function
_Z20warp_exchange_kernelILj128ELj4ELj32ELN6hipcub21WarpExchangeAlgorithmE1E18BlockedToStripedOpiEvPT4_: ; @_Z20warp_exchange_kernelILj128ELj4ELj32ELN6hipcub21WarpExchangeAlgorithmE1E18BlockedToStripedOpiEvPT4_
; %bb.0:
	v_mbcnt_lo_u32_b32 v2, -1, 0
	v_dual_mov_b32 v1, 0 :: v_dual_mov_b32 v4, 1
	v_mov_b32_e32 v5, 3
	s_load_b64 s[2:3], s[0:1], 0x0
	s_delay_alu instid0(VALU_DEP_3)
	v_dual_mov_b32 v6, 2 :: v_dual_and_b32 v3, 28, v2
	v_and_b32_e32 v2, 3, v2
	ds_bpermute_b32 v7, v3, v1
	ds_bpermute_b32 v8, v3, v4
	ds_bpermute_b32 v9, v3, v1 offset:32
	ds_bpermute_b32 v10, v3, v4 offset:32
	;; [unrolled: 1-line block ×7, first 2 shown]
	ds_bpermute_b32 v14, v3, v6
	ds_bpermute_b32 v16, v3, v6 offset:64
	ds_bpermute_b32 v6, v3, v6 offset:96
	ds_bpermute_b32 v17, v3, v5
	ds_bpermute_b32 v18, v3, v5 offset:32
	ds_bpermute_b32 v19, v3, v5 offset:64
	;; [unrolled: 1-line block ×3, first 2 shown]
	v_cmp_eq_u32_e32 vcc_lo, 1, v2
	v_lshlrev_b32_e32 v0, 2, v0
	v_cmp_eq_u32_e64 s0, 2, v2
	s_waitcnt lgkmcnt(0)
	v_cndmask_b32_e32 v5, v7, v8, vcc_lo
	v_cndmask_b32_e32 v7, v9, v10, vcc_lo
	v_lshl_or_b32 v0, s15, 9, v0
	s_delay_alu instid0(VALU_DEP_2) | instskip(SKIP_2) | instid1(VALU_DEP_2)
	v_cndmask_b32_e64 v7, v7, v15, s0
	v_cndmask_b32_e32 v4, v13, v4, vcc_lo
	v_cndmask_b32_e64 v9, v5, v14, s0
	v_cndmask_b32_e64 v6, v4, v6, s0
	v_cndmask_b32_e32 v8, v11, v12, vcc_lo
	v_cmp_eq_u32_e32 vcc_lo, 3, v2
	v_lshlrev_b64 v[4:5], 2, v[0:1]
	s_delay_alu instid0(VALU_DEP_4) | instskip(NEXT) | instid1(VALU_DEP_4)
	v_cndmask_b32_e32 v3, v6, v3, vcc_lo
	v_cndmask_b32_e64 v2, v8, v16, s0
	v_dual_cndmask_b32 v0, v9, v17 :: v_dual_cndmask_b32 v1, v7, v18
	s_delay_alu instid0(VALU_DEP_2)
	v_cndmask_b32_e32 v2, v2, v19, vcc_lo
	v_add_co_u32 v4, vcc_lo, s2, v4
	v_add_co_ci_u32_e32 v5, vcc_lo, s3, v5, vcc_lo
	global_store_b128 v[4:5], v[0:3], off
	s_nop 0
	s_sendmsg sendmsg(MSG_DEALLOC_VGPRS)
	s_endpgm
	.section	.rodata,"a",@progbits
	.p2align	6, 0x0
	.amdhsa_kernel _Z20warp_exchange_kernelILj128ELj4ELj32ELN6hipcub21WarpExchangeAlgorithmE1E18BlockedToStripedOpiEvPT4_
		.amdhsa_group_segment_fixed_size 0
		.amdhsa_private_segment_fixed_size 0
		.amdhsa_kernarg_size 8
		.amdhsa_user_sgpr_count 15
		.amdhsa_user_sgpr_dispatch_ptr 0
		.amdhsa_user_sgpr_queue_ptr 0
		.amdhsa_user_sgpr_kernarg_segment_ptr 1
		.amdhsa_user_sgpr_dispatch_id 0
		.amdhsa_user_sgpr_private_segment_size 0
		.amdhsa_wavefront_size32 1
		.amdhsa_uses_dynamic_stack 0
		.amdhsa_enable_private_segment 0
		.amdhsa_system_sgpr_workgroup_id_x 1
		.amdhsa_system_sgpr_workgroup_id_y 0
		.amdhsa_system_sgpr_workgroup_id_z 0
		.amdhsa_system_sgpr_workgroup_info 0
		.amdhsa_system_vgpr_workitem_id 0
		.amdhsa_next_free_vgpr 20
		.amdhsa_next_free_sgpr 16
		.amdhsa_reserve_vcc 1
		.amdhsa_float_round_mode_32 0
		.amdhsa_float_round_mode_16_64 0
		.amdhsa_float_denorm_mode_32 3
		.amdhsa_float_denorm_mode_16_64 3
		.amdhsa_dx10_clamp 1
		.amdhsa_ieee_mode 1
		.amdhsa_fp16_overflow 0
		.amdhsa_workgroup_processor_mode 1
		.amdhsa_memory_ordered 1
		.amdhsa_forward_progress 0
		.amdhsa_shared_vgpr_count 0
		.amdhsa_exception_fp_ieee_invalid_op 0
		.amdhsa_exception_fp_denorm_src 0
		.amdhsa_exception_fp_ieee_div_zero 0
		.amdhsa_exception_fp_ieee_overflow 0
		.amdhsa_exception_fp_ieee_underflow 0
		.amdhsa_exception_fp_ieee_inexact 0
		.amdhsa_exception_int_div_zero 0
	.end_amdhsa_kernel
	.section	.text._Z20warp_exchange_kernelILj128ELj4ELj32ELN6hipcub21WarpExchangeAlgorithmE1E18BlockedToStripedOpiEvPT4_,"axG",@progbits,_Z20warp_exchange_kernelILj128ELj4ELj32ELN6hipcub21WarpExchangeAlgorithmE1E18BlockedToStripedOpiEvPT4_,comdat
.Lfunc_end16:
	.size	_Z20warp_exchange_kernelILj128ELj4ELj32ELN6hipcub21WarpExchangeAlgorithmE1E18BlockedToStripedOpiEvPT4_, .Lfunc_end16-_Z20warp_exchange_kernelILj128ELj4ELj32ELN6hipcub21WarpExchangeAlgorithmE1E18BlockedToStripedOpiEvPT4_
                                        ; -- End function
	.section	.AMDGPU.csdata,"",@progbits
; Kernel info:
; codeLenInByte = 320
; NumSgprs: 18
; NumVgprs: 20
; ScratchSize: 0
; MemoryBound: 0
; FloatMode: 240
; IeeeMode: 1
; LDSByteSize: 0 bytes/workgroup (compile time only)
; SGPRBlocks: 2
; VGPRBlocks: 2
; NumSGPRsForWavesPerEU: 18
; NumVGPRsForWavesPerEU: 20
; Occupancy: 16
; WaveLimiterHint : 0
; COMPUTE_PGM_RSRC2:SCRATCH_EN: 0
; COMPUTE_PGM_RSRC2:USER_SGPR: 15
; COMPUTE_PGM_RSRC2:TRAP_HANDLER: 0
; COMPUTE_PGM_RSRC2:TGID_X_EN: 1
; COMPUTE_PGM_RSRC2:TGID_Y_EN: 0
; COMPUTE_PGM_RSRC2:TGID_Z_EN: 0
; COMPUTE_PGM_RSRC2:TIDIG_COMP_CNT: 0
	.section	.text._Z20warp_exchange_kernelILj256ELj4ELj32ELN6hipcub21WarpExchangeAlgorithmE1E18StripedToBlockedOpiEvPT4_,"axG",@progbits,_Z20warp_exchange_kernelILj256ELj4ELj32ELN6hipcub21WarpExchangeAlgorithmE1E18StripedToBlockedOpiEvPT4_,comdat
	.protected	_Z20warp_exchange_kernelILj256ELj4ELj32ELN6hipcub21WarpExchangeAlgorithmE1E18StripedToBlockedOpiEvPT4_ ; -- Begin function _Z20warp_exchange_kernelILj256ELj4ELj32ELN6hipcub21WarpExchangeAlgorithmE1E18StripedToBlockedOpiEvPT4_
	.globl	_Z20warp_exchange_kernelILj256ELj4ELj32ELN6hipcub21WarpExchangeAlgorithmE1E18StripedToBlockedOpiEvPT4_
	.p2align	8
	.type	_Z20warp_exchange_kernelILj256ELj4ELj32ELN6hipcub21WarpExchangeAlgorithmE1E18StripedToBlockedOpiEvPT4_,@function
_Z20warp_exchange_kernelILj256ELj4ELj32ELN6hipcub21WarpExchangeAlgorithmE1E18StripedToBlockedOpiEvPT4_: ; @_Z20warp_exchange_kernelILj256ELj4ELj32ELN6hipcub21WarpExchangeAlgorithmE1E18StripedToBlockedOpiEvPT4_
; %bb.0:
	v_mbcnt_lo_u32_b32 v2, -1, 0
	v_dual_mov_b32 v1, 0 :: v_dual_mov_b32 v6, 2
	v_dual_mov_b32 v5, 3 :: v_dual_lshlrev_b32 v0, 2, v0
	s_delay_alu instid0(VALU_DEP_3) | instskip(SKIP_2) | instid1(VALU_DEP_3)
	v_dual_mov_b32 v4, 1 :: v_dual_lshlrev_b32 v3, 4, v2
	v_lshrrev_b32_e32 v2, 3, v2
	s_load_b64 s[2:3], s[0:1], 0x0
	v_lshl_or_b32 v0, s15, 10, v0
	s_delay_alu instid0(VALU_DEP_2)
	v_cmp_eq_u32_e32 vcc_lo, 1, v2
	v_and_b32_e32 v3, 0x70, v3
	v_cmp_eq_u32_e64 s0, 2, v2
	ds_bpermute_b32 v7, v3, v1
	ds_bpermute_b32 v8, v3, v4
	ds_bpermute_b32 v11, v3, v1 offset:8
	ds_bpermute_b32 v12, v3, v4 offset:8
	;; [unrolled: 1-line block ×7, first 2 shown]
	ds_bpermute_b32 v14, v3, v6
	ds_bpermute_b32 v15, v3, v6 offset:4
	ds_bpermute_b32 v6, v3, v6 offset:12
	;; [unrolled: 1-line block ×3, first 2 shown]
	ds_bpermute_b32 v17, v3, v5
	ds_bpermute_b32 v18, v3, v5 offset:4
	ds_bpermute_b32 v3, v3, v5 offset:12
	s_waitcnt lgkmcnt(0)
	v_cndmask_b32_e32 v5, v7, v8, vcc_lo
	v_cndmask_b32_e32 v8, v11, v12, vcc_lo
	;; [unrolled: 1-line block ×4, first 2 shown]
	v_cmp_eq_u32_e32 vcc_lo, 3, v2
	s_delay_alu instid0(VALU_DEP_4) | instskip(SKIP_3) | instid1(VALU_DEP_4)
	v_cndmask_b32_e64 v2, v8, v16, s0
	v_cndmask_b32_e64 v9, v5, v14, s0
	;; [unrolled: 1-line block ×3, first 2 shown]
	v_lshlrev_b64 v[4:5], 2, v[0:1]
	v_cndmask_b32_e32 v2, v2, v19, vcc_lo
	v_cndmask_b32_e64 v7, v7, v15, s0
	s_delay_alu instid0(VALU_DEP_4) | instskip(NEXT) | instid1(VALU_DEP_2)
	v_dual_cndmask_b32 v0, v9, v17 :: v_dual_cndmask_b32 v3, v6, v3
	v_cndmask_b32_e32 v1, v7, v18, vcc_lo
	v_add_co_u32 v4, vcc_lo, s2, v4
	v_add_co_ci_u32_e32 v5, vcc_lo, s3, v5, vcc_lo
	global_store_b128 v[4:5], v[0:3], off
	s_nop 0
	s_sendmsg sendmsg(MSG_DEALLOC_VGPRS)
	s_endpgm
	.section	.rodata,"a",@progbits
	.p2align	6, 0x0
	.amdhsa_kernel _Z20warp_exchange_kernelILj256ELj4ELj32ELN6hipcub21WarpExchangeAlgorithmE1E18StripedToBlockedOpiEvPT4_
		.amdhsa_group_segment_fixed_size 0
		.amdhsa_private_segment_fixed_size 0
		.amdhsa_kernarg_size 8
		.amdhsa_user_sgpr_count 15
		.amdhsa_user_sgpr_dispatch_ptr 0
		.amdhsa_user_sgpr_queue_ptr 0
		.amdhsa_user_sgpr_kernarg_segment_ptr 1
		.amdhsa_user_sgpr_dispatch_id 0
		.amdhsa_user_sgpr_private_segment_size 0
		.amdhsa_wavefront_size32 1
		.amdhsa_uses_dynamic_stack 0
		.amdhsa_enable_private_segment 0
		.amdhsa_system_sgpr_workgroup_id_x 1
		.amdhsa_system_sgpr_workgroup_id_y 0
		.amdhsa_system_sgpr_workgroup_id_z 0
		.amdhsa_system_sgpr_workgroup_info 0
		.amdhsa_system_vgpr_workitem_id 0
		.amdhsa_next_free_vgpr 20
		.amdhsa_next_free_sgpr 16
		.amdhsa_reserve_vcc 1
		.amdhsa_float_round_mode_32 0
		.amdhsa_float_round_mode_16_64 0
		.amdhsa_float_denorm_mode_32 3
		.amdhsa_float_denorm_mode_16_64 3
		.amdhsa_dx10_clamp 1
		.amdhsa_ieee_mode 1
		.amdhsa_fp16_overflow 0
		.amdhsa_workgroup_processor_mode 1
		.amdhsa_memory_ordered 1
		.amdhsa_forward_progress 0
		.amdhsa_shared_vgpr_count 0
		.amdhsa_exception_fp_ieee_invalid_op 0
		.amdhsa_exception_fp_denorm_src 0
		.amdhsa_exception_fp_ieee_div_zero 0
		.amdhsa_exception_fp_ieee_overflow 0
		.amdhsa_exception_fp_ieee_underflow 0
		.amdhsa_exception_fp_ieee_inexact 0
		.amdhsa_exception_int_div_zero 0
	.end_amdhsa_kernel
	.section	.text._Z20warp_exchange_kernelILj256ELj4ELj32ELN6hipcub21WarpExchangeAlgorithmE1E18StripedToBlockedOpiEvPT4_,"axG",@progbits,_Z20warp_exchange_kernelILj256ELj4ELj32ELN6hipcub21WarpExchangeAlgorithmE1E18StripedToBlockedOpiEvPT4_,comdat
.Lfunc_end17:
	.size	_Z20warp_exchange_kernelILj256ELj4ELj32ELN6hipcub21WarpExchangeAlgorithmE1E18StripedToBlockedOpiEvPT4_, .Lfunc_end17-_Z20warp_exchange_kernelILj256ELj4ELj32ELN6hipcub21WarpExchangeAlgorithmE1E18StripedToBlockedOpiEvPT4_
                                        ; -- End function
	.section	.AMDGPU.csdata,"",@progbits
; Kernel info:
; codeLenInByte = 328
; NumSgprs: 18
; NumVgprs: 20
; ScratchSize: 0
; MemoryBound: 0
; FloatMode: 240
; IeeeMode: 1
; LDSByteSize: 0 bytes/workgroup (compile time only)
; SGPRBlocks: 2
; VGPRBlocks: 2
; NumSGPRsForWavesPerEU: 18
; NumVGPRsForWavesPerEU: 20
; Occupancy: 16
; WaveLimiterHint : 0
; COMPUTE_PGM_RSRC2:SCRATCH_EN: 0
; COMPUTE_PGM_RSRC2:USER_SGPR: 15
; COMPUTE_PGM_RSRC2:TRAP_HANDLER: 0
; COMPUTE_PGM_RSRC2:TGID_X_EN: 1
; COMPUTE_PGM_RSRC2:TGID_Y_EN: 0
; COMPUTE_PGM_RSRC2:TGID_Z_EN: 0
; COMPUTE_PGM_RSRC2:TIDIG_COMP_CNT: 0
	.section	.text._Z20warp_exchange_kernelILj256ELj4ELj32ELN6hipcub21WarpExchangeAlgorithmE1E18BlockedToStripedOpiEvPT4_,"axG",@progbits,_Z20warp_exchange_kernelILj256ELj4ELj32ELN6hipcub21WarpExchangeAlgorithmE1E18BlockedToStripedOpiEvPT4_,comdat
	.protected	_Z20warp_exchange_kernelILj256ELj4ELj32ELN6hipcub21WarpExchangeAlgorithmE1E18BlockedToStripedOpiEvPT4_ ; -- Begin function _Z20warp_exchange_kernelILj256ELj4ELj32ELN6hipcub21WarpExchangeAlgorithmE1E18BlockedToStripedOpiEvPT4_
	.globl	_Z20warp_exchange_kernelILj256ELj4ELj32ELN6hipcub21WarpExchangeAlgorithmE1E18BlockedToStripedOpiEvPT4_
	.p2align	8
	.type	_Z20warp_exchange_kernelILj256ELj4ELj32ELN6hipcub21WarpExchangeAlgorithmE1E18BlockedToStripedOpiEvPT4_,@function
_Z20warp_exchange_kernelILj256ELj4ELj32ELN6hipcub21WarpExchangeAlgorithmE1E18BlockedToStripedOpiEvPT4_: ; @_Z20warp_exchange_kernelILj256ELj4ELj32ELN6hipcub21WarpExchangeAlgorithmE1E18BlockedToStripedOpiEvPT4_
; %bb.0:
	v_mbcnt_lo_u32_b32 v2, -1, 0
	v_dual_mov_b32 v1, 0 :: v_dual_mov_b32 v4, 1
	v_mov_b32_e32 v5, 3
	s_load_b64 s[2:3], s[0:1], 0x0
	s_delay_alu instid0(VALU_DEP_3)
	v_dual_mov_b32 v6, 2 :: v_dual_and_b32 v3, 28, v2
	v_and_b32_e32 v2, 3, v2
	ds_bpermute_b32 v7, v3, v1
	ds_bpermute_b32 v8, v3, v4
	ds_bpermute_b32 v9, v3, v1 offset:32
	ds_bpermute_b32 v10, v3, v4 offset:32
	;; [unrolled: 1-line block ×7, first 2 shown]
	ds_bpermute_b32 v14, v3, v6
	ds_bpermute_b32 v16, v3, v6 offset:64
	ds_bpermute_b32 v6, v3, v6 offset:96
	ds_bpermute_b32 v17, v3, v5
	ds_bpermute_b32 v18, v3, v5 offset:32
	ds_bpermute_b32 v19, v3, v5 offset:64
	ds_bpermute_b32 v3, v3, v5 offset:96
	v_cmp_eq_u32_e32 vcc_lo, 1, v2
	v_lshlrev_b32_e32 v0, 2, v0
	v_cmp_eq_u32_e64 s0, 2, v2
	s_waitcnt lgkmcnt(0)
	v_cndmask_b32_e32 v5, v7, v8, vcc_lo
	v_cndmask_b32_e32 v7, v9, v10, vcc_lo
	v_lshl_or_b32 v0, s15, 10, v0
	s_delay_alu instid0(VALU_DEP_2) | instskip(SKIP_2) | instid1(VALU_DEP_2)
	v_cndmask_b32_e64 v7, v7, v15, s0
	v_cndmask_b32_e32 v4, v13, v4, vcc_lo
	v_cndmask_b32_e64 v9, v5, v14, s0
	v_cndmask_b32_e64 v6, v4, v6, s0
	v_cndmask_b32_e32 v8, v11, v12, vcc_lo
	v_cmp_eq_u32_e32 vcc_lo, 3, v2
	v_lshlrev_b64 v[4:5], 2, v[0:1]
	s_delay_alu instid0(VALU_DEP_4) | instskip(NEXT) | instid1(VALU_DEP_4)
	v_cndmask_b32_e32 v3, v6, v3, vcc_lo
	v_cndmask_b32_e64 v2, v8, v16, s0
	v_dual_cndmask_b32 v0, v9, v17 :: v_dual_cndmask_b32 v1, v7, v18
	s_delay_alu instid0(VALU_DEP_2)
	v_cndmask_b32_e32 v2, v2, v19, vcc_lo
	v_add_co_u32 v4, vcc_lo, s2, v4
	v_add_co_ci_u32_e32 v5, vcc_lo, s3, v5, vcc_lo
	global_store_b128 v[4:5], v[0:3], off
	s_nop 0
	s_sendmsg sendmsg(MSG_DEALLOC_VGPRS)
	s_endpgm
	.section	.rodata,"a",@progbits
	.p2align	6, 0x0
	.amdhsa_kernel _Z20warp_exchange_kernelILj256ELj4ELj32ELN6hipcub21WarpExchangeAlgorithmE1E18BlockedToStripedOpiEvPT4_
		.amdhsa_group_segment_fixed_size 0
		.amdhsa_private_segment_fixed_size 0
		.amdhsa_kernarg_size 8
		.amdhsa_user_sgpr_count 15
		.amdhsa_user_sgpr_dispatch_ptr 0
		.amdhsa_user_sgpr_queue_ptr 0
		.amdhsa_user_sgpr_kernarg_segment_ptr 1
		.amdhsa_user_sgpr_dispatch_id 0
		.amdhsa_user_sgpr_private_segment_size 0
		.amdhsa_wavefront_size32 1
		.amdhsa_uses_dynamic_stack 0
		.amdhsa_enable_private_segment 0
		.amdhsa_system_sgpr_workgroup_id_x 1
		.amdhsa_system_sgpr_workgroup_id_y 0
		.amdhsa_system_sgpr_workgroup_id_z 0
		.amdhsa_system_sgpr_workgroup_info 0
		.amdhsa_system_vgpr_workitem_id 0
		.amdhsa_next_free_vgpr 20
		.amdhsa_next_free_sgpr 16
		.amdhsa_reserve_vcc 1
		.amdhsa_float_round_mode_32 0
		.amdhsa_float_round_mode_16_64 0
		.amdhsa_float_denorm_mode_32 3
		.amdhsa_float_denorm_mode_16_64 3
		.amdhsa_dx10_clamp 1
		.amdhsa_ieee_mode 1
		.amdhsa_fp16_overflow 0
		.amdhsa_workgroup_processor_mode 1
		.amdhsa_memory_ordered 1
		.amdhsa_forward_progress 0
		.amdhsa_shared_vgpr_count 0
		.amdhsa_exception_fp_ieee_invalid_op 0
		.amdhsa_exception_fp_denorm_src 0
		.amdhsa_exception_fp_ieee_div_zero 0
		.amdhsa_exception_fp_ieee_overflow 0
		.amdhsa_exception_fp_ieee_underflow 0
		.amdhsa_exception_fp_ieee_inexact 0
		.amdhsa_exception_int_div_zero 0
	.end_amdhsa_kernel
	.section	.text._Z20warp_exchange_kernelILj256ELj4ELj32ELN6hipcub21WarpExchangeAlgorithmE1E18BlockedToStripedOpiEvPT4_,"axG",@progbits,_Z20warp_exchange_kernelILj256ELj4ELj32ELN6hipcub21WarpExchangeAlgorithmE1E18BlockedToStripedOpiEvPT4_,comdat
.Lfunc_end18:
	.size	_Z20warp_exchange_kernelILj256ELj4ELj32ELN6hipcub21WarpExchangeAlgorithmE1E18BlockedToStripedOpiEvPT4_, .Lfunc_end18-_Z20warp_exchange_kernelILj256ELj4ELj32ELN6hipcub21WarpExchangeAlgorithmE1E18BlockedToStripedOpiEvPT4_
                                        ; -- End function
	.section	.AMDGPU.csdata,"",@progbits
; Kernel info:
; codeLenInByte = 320
; NumSgprs: 18
; NumVgprs: 20
; ScratchSize: 0
; MemoryBound: 0
; FloatMode: 240
; IeeeMode: 1
; LDSByteSize: 0 bytes/workgroup (compile time only)
; SGPRBlocks: 2
; VGPRBlocks: 2
; NumSGPRsForWavesPerEU: 18
; NumVGPRsForWavesPerEU: 20
; Occupancy: 16
; WaveLimiterHint : 0
; COMPUTE_PGM_RSRC2:SCRATCH_EN: 0
; COMPUTE_PGM_RSRC2:USER_SGPR: 15
; COMPUTE_PGM_RSRC2:TRAP_HANDLER: 0
; COMPUTE_PGM_RSRC2:TGID_X_EN: 1
; COMPUTE_PGM_RSRC2:TGID_Y_EN: 0
; COMPUTE_PGM_RSRC2:TGID_Z_EN: 0
; COMPUTE_PGM_RSRC2:TIDIG_COMP_CNT: 0
	.section	.text._Z20warp_exchange_kernelILj128ELj4ELj64ELN6hipcub21WarpExchangeAlgorithmE0E18StripedToBlockedOpiEvPT4_,"axG",@progbits,_Z20warp_exchange_kernelILj128ELj4ELj64ELN6hipcub21WarpExchangeAlgorithmE0E18StripedToBlockedOpiEvPT4_,comdat
	.protected	_Z20warp_exchange_kernelILj128ELj4ELj64ELN6hipcub21WarpExchangeAlgorithmE0E18StripedToBlockedOpiEvPT4_ ; -- Begin function _Z20warp_exchange_kernelILj128ELj4ELj64ELN6hipcub21WarpExchangeAlgorithmE0E18StripedToBlockedOpiEvPT4_
	.globl	_Z20warp_exchange_kernelILj128ELj4ELj64ELN6hipcub21WarpExchangeAlgorithmE0E18StripedToBlockedOpiEvPT4_
	.p2align	8
	.type	_Z20warp_exchange_kernelILj128ELj4ELj64ELN6hipcub21WarpExchangeAlgorithmE0E18StripedToBlockedOpiEvPT4_,@function
_Z20warp_exchange_kernelILj128ELj4ELj64ELN6hipcub21WarpExchangeAlgorithmE0E18StripedToBlockedOpiEvPT4_: ; @_Z20warp_exchange_kernelILj128ELj4ELj64ELN6hipcub21WarpExchangeAlgorithmE0E18StripedToBlockedOpiEvPT4_
; %bb.0:
	s_endpgm
	.section	.rodata,"a",@progbits
	.p2align	6, 0x0
	.amdhsa_kernel _Z20warp_exchange_kernelILj128ELj4ELj64ELN6hipcub21WarpExchangeAlgorithmE0E18StripedToBlockedOpiEvPT4_
		.amdhsa_group_segment_fixed_size 0
		.amdhsa_private_segment_fixed_size 0
		.amdhsa_kernarg_size 8
		.amdhsa_user_sgpr_count 15
		.amdhsa_user_sgpr_dispatch_ptr 0
		.amdhsa_user_sgpr_queue_ptr 0
		.amdhsa_user_sgpr_kernarg_segment_ptr 1
		.amdhsa_user_sgpr_dispatch_id 0
		.amdhsa_user_sgpr_private_segment_size 0
		.amdhsa_wavefront_size32 1
		.amdhsa_uses_dynamic_stack 0
		.amdhsa_enable_private_segment 0
		.amdhsa_system_sgpr_workgroup_id_x 1
		.amdhsa_system_sgpr_workgroup_id_y 0
		.amdhsa_system_sgpr_workgroup_id_z 0
		.amdhsa_system_sgpr_workgroup_info 0
		.amdhsa_system_vgpr_workitem_id 0
		.amdhsa_next_free_vgpr 1
		.amdhsa_next_free_sgpr 1
		.amdhsa_reserve_vcc 0
		.amdhsa_float_round_mode_32 0
		.amdhsa_float_round_mode_16_64 0
		.amdhsa_float_denorm_mode_32 3
		.amdhsa_float_denorm_mode_16_64 3
		.amdhsa_dx10_clamp 1
		.amdhsa_ieee_mode 1
		.amdhsa_fp16_overflow 0
		.amdhsa_workgroup_processor_mode 1
		.amdhsa_memory_ordered 1
		.amdhsa_forward_progress 0
		.amdhsa_shared_vgpr_count 0
		.amdhsa_exception_fp_ieee_invalid_op 0
		.amdhsa_exception_fp_denorm_src 0
		.amdhsa_exception_fp_ieee_div_zero 0
		.amdhsa_exception_fp_ieee_overflow 0
		.amdhsa_exception_fp_ieee_underflow 0
		.amdhsa_exception_fp_ieee_inexact 0
		.amdhsa_exception_int_div_zero 0
	.end_amdhsa_kernel
	.section	.text._Z20warp_exchange_kernelILj128ELj4ELj64ELN6hipcub21WarpExchangeAlgorithmE0E18StripedToBlockedOpiEvPT4_,"axG",@progbits,_Z20warp_exchange_kernelILj128ELj4ELj64ELN6hipcub21WarpExchangeAlgorithmE0E18StripedToBlockedOpiEvPT4_,comdat
.Lfunc_end19:
	.size	_Z20warp_exchange_kernelILj128ELj4ELj64ELN6hipcub21WarpExchangeAlgorithmE0E18StripedToBlockedOpiEvPT4_, .Lfunc_end19-_Z20warp_exchange_kernelILj128ELj4ELj64ELN6hipcub21WarpExchangeAlgorithmE0E18StripedToBlockedOpiEvPT4_
                                        ; -- End function
	.section	.AMDGPU.csdata,"",@progbits
; Kernel info:
; codeLenInByte = 4
; NumSgprs: 0
; NumVgprs: 0
; ScratchSize: 0
; MemoryBound: 0
; FloatMode: 240
; IeeeMode: 1
; LDSByteSize: 0 bytes/workgroup (compile time only)
; SGPRBlocks: 0
; VGPRBlocks: 0
; NumSGPRsForWavesPerEU: 1
; NumVGPRsForWavesPerEU: 1
; Occupancy: 16
; WaveLimiterHint : 0
; COMPUTE_PGM_RSRC2:SCRATCH_EN: 0
; COMPUTE_PGM_RSRC2:USER_SGPR: 15
; COMPUTE_PGM_RSRC2:TRAP_HANDLER: 0
; COMPUTE_PGM_RSRC2:TGID_X_EN: 1
; COMPUTE_PGM_RSRC2:TGID_Y_EN: 0
; COMPUTE_PGM_RSRC2:TGID_Z_EN: 0
; COMPUTE_PGM_RSRC2:TIDIG_COMP_CNT: 0
	.section	.text._Z20warp_exchange_kernelILj128ELj4ELj64ELN6hipcub21WarpExchangeAlgorithmE1E18StripedToBlockedOpiEvPT4_,"axG",@progbits,_Z20warp_exchange_kernelILj128ELj4ELj64ELN6hipcub21WarpExchangeAlgorithmE1E18StripedToBlockedOpiEvPT4_,comdat
	.protected	_Z20warp_exchange_kernelILj128ELj4ELj64ELN6hipcub21WarpExchangeAlgorithmE1E18StripedToBlockedOpiEvPT4_ ; -- Begin function _Z20warp_exchange_kernelILj128ELj4ELj64ELN6hipcub21WarpExchangeAlgorithmE1E18StripedToBlockedOpiEvPT4_
	.globl	_Z20warp_exchange_kernelILj128ELj4ELj64ELN6hipcub21WarpExchangeAlgorithmE1E18StripedToBlockedOpiEvPT4_
	.p2align	8
	.type	_Z20warp_exchange_kernelILj128ELj4ELj64ELN6hipcub21WarpExchangeAlgorithmE1E18StripedToBlockedOpiEvPT4_,@function
_Z20warp_exchange_kernelILj128ELj4ELj64ELN6hipcub21WarpExchangeAlgorithmE1E18StripedToBlockedOpiEvPT4_: ; @_Z20warp_exchange_kernelILj128ELj4ELj64ELN6hipcub21WarpExchangeAlgorithmE1E18StripedToBlockedOpiEvPT4_
; %bb.0:
	s_endpgm
	.section	.rodata,"a",@progbits
	.p2align	6, 0x0
	.amdhsa_kernel _Z20warp_exchange_kernelILj128ELj4ELj64ELN6hipcub21WarpExchangeAlgorithmE1E18StripedToBlockedOpiEvPT4_
		.amdhsa_group_segment_fixed_size 0
		.amdhsa_private_segment_fixed_size 0
		.amdhsa_kernarg_size 8
		.amdhsa_user_sgpr_count 15
		.amdhsa_user_sgpr_dispatch_ptr 0
		.amdhsa_user_sgpr_queue_ptr 0
		.amdhsa_user_sgpr_kernarg_segment_ptr 1
		.amdhsa_user_sgpr_dispatch_id 0
		.amdhsa_user_sgpr_private_segment_size 0
		.amdhsa_wavefront_size32 1
		.amdhsa_uses_dynamic_stack 0
		.amdhsa_enable_private_segment 0
		.amdhsa_system_sgpr_workgroup_id_x 1
		.amdhsa_system_sgpr_workgroup_id_y 0
		.amdhsa_system_sgpr_workgroup_id_z 0
		.amdhsa_system_sgpr_workgroup_info 0
		.amdhsa_system_vgpr_workitem_id 0
		.amdhsa_next_free_vgpr 1
		.amdhsa_next_free_sgpr 1
		.amdhsa_reserve_vcc 0
		.amdhsa_float_round_mode_32 0
		.amdhsa_float_round_mode_16_64 0
		.amdhsa_float_denorm_mode_32 3
		.amdhsa_float_denorm_mode_16_64 3
		.amdhsa_dx10_clamp 1
		.amdhsa_ieee_mode 1
		.amdhsa_fp16_overflow 0
		.amdhsa_workgroup_processor_mode 1
		.amdhsa_memory_ordered 1
		.amdhsa_forward_progress 0
		.amdhsa_shared_vgpr_count 0
		.amdhsa_exception_fp_ieee_invalid_op 0
		.amdhsa_exception_fp_denorm_src 0
		.amdhsa_exception_fp_ieee_div_zero 0
		.amdhsa_exception_fp_ieee_overflow 0
		.amdhsa_exception_fp_ieee_underflow 0
		.amdhsa_exception_fp_ieee_inexact 0
		.amdhsa_exception_int_div_zero 0
	.end_amdhsa_kernel
	.section	.text._Z20warp_exchange_kernelILj128ELj4ELj64ELN6hipcub21WarpExchangeAlgorithmE1E18StripedToBlockedOpiEvPT4_,"axG",@progbits,_Z20warp_exchange_kernelILj128ELj4ELj64ELN6hipcub21WarpExchangeAlgorithmE1E18StripedToBlockedOpiEvPT4_,comdat
.Lfunc_end20:
	.size	_Z20warp_exchange_kernelILj128ELj4ELj64ELN6hipcub21WarpExchangeAlgorithmE1E18StripedToBlockedOpiEvPT4_, .Lfunc_end20-_Z20warp_exchange_kernelILj128ELj4ELj64ELN6hipcub21WarpExchangeAlgorithmE1E18StripedToBlockedOpiEvPT4_
                                        ; -- End function
	.section	.AMDGPU.csdata,"",@progbits
; Kernel info:
; codeLenInByte = 4
; NumSgprs: 0
; NumVgprs: 0
; ScratchSize: 0
; MemoryBound: 0
; FloatMode: 240
; IeeeMode: 1
; LDSByteSize: 0 bytes/workgroup (compile time only)
; SGPRBlocks: 0
; VGPRBlocks: 0
; NumSGPRsForWavesPerEU: 1
; NumVGPRsForWavesPerEU: 1
; Occupancy: 16
; WaveLimiterHint : 0
; COMPUTE_PGM_RSRC2:SCRATCH_EN: 0
; COMPUTE_PGM_RSRC2:USER_SGPR: 15
; COMPUTE_PGM_RSRC2:TRAP_HANDLER: 0
; COMPUTE_PGM_RSRC2:TGID_X_EN: 1
; COMPUTE_PGM_RSRC2:TGID_Y_EN: 0
; COMPUTE_PGM_RSRC2:TGID_Z_EN: 0
; COMPUTE_PGM_RSRC2:TIDIG_COMP_CNT: 0
	.section	.text._Z20warp_exchange_kernelILj128ELj4ELj64ELN6hipcub21WarpExchangeAlgorithmE0E18BlockedToStripedOpiEvPT4_,"axG",@progbits,_Z20warp_exchange_kernelILj128ELj4ELj64ELN6hipcub21WarpExchangeAlgorithmE0E18BlockedToStripedOpiEvPT4_,comdat
	.protected	_Z20warp_exchange_kernelILj128ELj4ELj64ELN6hipcub21WarpExchangeAlgorithmE0E18BlockedToStripedOpiEvPT4_ ; -- Begin function _Z20warp_exchange_kernelILj128ELj4ELj64ELN6hipcub21WarpExchangeAlgorithmE0E18BlockedToStripedOpiEvPT4_
	.globl	_Z20warp_exchange_kernelILj128ELj4ELj64ELN6hipcub21WarpExchangeAlgorithmE0E18BlockedToStripedOpiEvPT4_
	.p2align	8
	.type	_Z20warp_exchange_kernelILj128ELj4ELj64ELN6hipcub21WarpExchangeAlgorithmE0E18BlockedToStripedOpiEvPT4_,@function
_Z20warp_exchange_kernelILj128ELj4ELj64ELN6hipcub21WarpExchangeAlgorithmE0E18BlockedToStripedOpiEvPT4_: ; @_Z20warp_exchange_kernelILj128ELj4ELj64ELN6hipcub21WarpExchangeAlgorithmE0E18BlockedToStripedOpiEvPT4_
; %bb.0:
	s_endpgm
	.section	.rodata,"a",@progbits
	.p2align	6, 0x0
	.amdhsa_kernel _Z20warp_exchange_kernelILj128ELj4ELj64ELN6hipcub21WarpExchangeAlgorithmE0E18BlockedToStripedOpiEvPT4_
		.amdhsa_group_segment_fixed_size 0
		.amdhsa_private_segment_fixed_size 0
		.amdhsa_kernarg_size 8
		.amdhsa_user_sgpr_count 15
		.amdhsa_user_sgpr_dispatch_ptr 0
		.amdhsa_user_sgpr_queue_ptr 0
		.amdhsa_user_sgpr_kernarg_segment_ptr 1
		.amdhsa_user_sgpr_dispatch_id 0
		.amdhsa_user_sgpr_private_segment_size 0
		.amdhsa_wavefront_size32 1
		.amdhsa_uses_dynamic_stack 0
		.amdhsa_enable_private_segment 0
		.amdhsa_system_sgpr_workgroup_id_x 1
		.amdhsa_system_sgpr_workgroup_id_y 0
		.amdhsa_system_sgpr_workgroup_id_z 0
		.amdhsa_system_sgpr_workgroup_info 0
		.amdhsa_system_vgpr_workitem_id 0
		.amdhsa_next_free_vgpr 1
		.amdhsa_next_free_sgpr 1
		.amdhsa_reserve_vcc 0
		.amdhsa_float_round_mode_32 0
		.amdhsa_float_round_mode_16_64 0
		.amdhsa_float_denorm_mode_32 3
		.amdhsa_float_denorm_mode_16_64 3
		.amdhsa_dx10_clamp 1
		.amdhsa_ieee_mode 1
		.amdhsa_fp16_overflow 0
		.amdhsa_workgroup_processor_mode 1
		.amdhsa_memory_ordered 1
		.amdhsa_forward_progress 0
		.amdhsa_shared_vgpr_count 0
		.amdhsa_exception_fp_ieee_invalid_op 0
		.amdhsa_exception_fp_denorm_src 0
		.amdhsa_exception_fp_ieee_div_zero 0
		.amdhsa_exception_fp_ieee_overflow 0
		.amdhsa_exception_fp_ieee_underflow 0
		.amdhsa_exception_fp_ieee_inexact 0
		.amdhsa_exception_int_div_zero 0
	.end_amdhsa_kernel
	.section	.text._Z20warp_exchange_kernelILj128ELj4ELj64ELN6hipcub21WarpExchangeAlgorithmE0E18BlockedToStripedOpiEvPT4_,"axG",@progbits,_Z20warp_exchange_kernelILj128ELj4ELj64ELN6hipcub21WarpExchangeAlgorithmE0E18BlockedToStripedOpiEvPT4_,comdat
.Lfunc_end21:
	.size	_Z20warp_exchange_kernelILj128ELj4ELj64ELN6hipcub21WarpExchangeAlgorithmE0E18BlockedToStripedOpiEvPT4_, .Lfunc_end21-_Z20warp_exchange_kernelILj128ELj4ELj64ELN6hipcub21WarpExchangeAlgorithmE0E18BlockedToStripedOpiEvPT4_
                                        ; -- End function
	.section	.AMDGPU.csdata,"",@progbits
; Kernel info:
; codeLenInByte = 4
; NumSgprs: 0
; NumVgprs: 0
; ScratchSize: 0
; MemoryBound: 0
; FloatMode: 240
; IeeeMode: 1
; LDSByteSize: 0 bytes/workgroup (compile time only)
; SGPRBlocks: 0
; VGPRBlocks: 0
; NumSGPRsForWavesPerEU: 1
; NumVGPRsForWavesPerEU: 1
; Occupancy: 16
; WaveLimiterHint : 0
; COMPUTE_PGM_RSRC2:SCRATCH_EN: 0
; COMPUTE_PGM_RSRC2:USER_SGPR: 15
; COMPUTE_PGM_RSRC2:TRAP_HANDLER: 0
; COMPUTE_PGM_RSRC2:TGID_X_EN: 1
; COMPUTE_PGM_RSRC2:TGID_Y_EN: 0
; COMPUTE_PGM_RSRC2:TGID_Z_EN: 0
; COMPUTE_PGM_RSRC2:TIDIG_COMP_CNT: 0
	.section	.text._Z20warp_exchange_kernelILj128ELj4ELj64ELN6hipcub21WarpExchangeAlgorithmE1E18BlockedToStripedOpiEvPT4_,"axG",@progbits,_Z20warp_exchange_kernelILj128ELj4ELj64ELN6hipcub21WarpExchangeAlgorithmE1E18BlockedToStripedOpiEvPT4_,comdat
	.protected	_Z20warp_exchange_kernelILj128ELj4ELj64ELN6hipcub21WarpExchangeAlgorithmE1E18BlockedToStripedOpiEvPT4_ ; -- Begin function _Z20warp_exchange_kernelILj128ELj4ELj64ELN6hipcub21WarpExchangeAlgorithmE1E18BlockedToStripedOpiEvPT4_
	.globl	_Z20warp_exchange_kernelILj128ELj4ELj64ELN6hipcub21WarpExchangeAlgorithmE1E18BlockedToStripedOpiEvPT4_
	.p2align	8
	.type	_Z20warp_exchange_kernelILj128ELj4ELj64ELN6hipcub21WarpExchangeAlgorithmE1E18BlockedToStripedOpiEvPT4_,@function
_Z20warp_exchange_kernelILj128ELj4ELj64ELN6hipcub21WarpExchangeAlgorithmE1E18BlockedToStripedOpiEvPT4_: ; @_Z20warp_exchange_kernelILj128ELj4ELj64ELN6hipcub21WarpExchangeAlgorithmE1E18BlockedToStripedOpiEvPT4_
; %bb.0:
	s_endpgm
	.section	.rodata,"a",@progbits
	.p2align	6, 0x0
	.amdhsa_kernel _Z20warp_exchange_kernelILj128ELj4ELj64ELN6hipcub21WarpExchangeAlgorithmE1E18BlockedToStripedOpiEvPT4_
		.amdhsa_group_segment_fixed_size 0
		.amdhsa_private_segment_fixed_size 0
		.amdhsa_kernarg_size 8
		.amdhsa_user_sgpr_count 15
		.amdhsa_user_sgpr_dispatch_ptr 0
		.amdhsa_user_sgpr_queue_ptr 0
		.amdhsa_user_sgpr_kernarg_segment_ptr 1
		.amdhsa_user_sgpr_dispatch_id 0
		.amdhsa_user_sgpr_private_segment_size 0
		.amdhsa_wavefront_size32 1
		.amdhsa_uses_dynamic_stack 0
		.amdhsa_enable_private_segment 0
		.amdhsa_system_sgpr_workgroup_id_x 1
		.amdhsa_system_sgpr_workgroup_id_y 0
		.amdhsa_system_sgpr_workgroup_id_z 0
		.amdhsa_system_sgpr_workgroup_info 0
		.amdhsa_system_vgpr_workitem_id 0
		.amdhsa_next_free_vgpr 1
		.amdhsa_next_free_sgpr 1
		.amdhsa_reserve_vcc 0
		.amdhsa_float_round_mode_32 0
		.amdhsa_float_round_mode_16_64 0
		.amdhsa_float_denorm_mode_32 3
		.amdhsa_float_denorm_mode_16_64 3
		.amdhsa_dx10_clamp 1
		.amdhsa_ieee_mode 1
		.amdhsa_fp16_overflow 0
		.amdhsa_workgroup_processor_mode 1
		.amdhsa_memory_ordered 1
		.amdhsa_forward_progress 0
		.amdhsa_shared_vgpr_count 0
		.amdhsa_exception_fp_ieee_invalid_op 0
		.amdhsa_exception_fp_denorm_src 0
		.amdhsa_exception_fp_ieee_div_zero 0
		.amdhsa_exception_fp_ieee_overflow 0
		.amdhsa_exception_fp_ieee_underflow 0
		.amdhsa_exception_fp_ieee_inexact 0
		.amdhsa_exception_int_div_zero 0
	.end_amdhsa_kernel
	.section	.text._Z20warp_exchange_kernelILj128ELj4ELj64ELN6hipcub21WarpExchangeAlgorithmE1E18BlockedToStripedOpiEvPT4_,"axG",@progbits,_Z20warp_exchange_kernelILj128ELj4ELj64ELN6hipcub21WarpExchangeAlgorithmE1E18BlockedToStripedOpiEvPT4_,comdat
.Lfunc_end22:
	.size	_Z20warp_exchange_kernelILj128ELj4ELj64ELN6hipcub21WarpExchangeAlgorithmE1E18BlockedToStripedOpiEvPT4_, .Lfunc_end22-_Z20warp_exchange_kernelILj128ELj4ELj64ELN6hipcub21WarpExchangeAlgorithmE1E18BlockedToStripedOpiEvPT4_
                                        ; -- End function
	.section	.AMDGPU.csdata,"",@progbits
; Kernel info:
; codeLenInByte = 4
; NumSgprs: 0
; NumVgprs: 0
; ScratchSize: 0
; MemoryBound: 0
; FloatMode: 240
; IeeeMode: 1
; LDSByteSize: 0 bytes/workgroup (compile time only)
; SGPRBlocks: 0
; VGPRBlocks: 0
; NumSGPRsForWavesPerEU: 1
; NumVGPRsForWavesPerEU: 1
; Occupancy: 16
; WaveLimiterHint : 0
; COMPUTE_PGM_RSRC2:SCRATCH_EN: 0
; COMPUTE_PGM_RSRC2:USER_SGPR: 15
; COMPUTE_PGM_RSRC2:TRAP_HANDLER: 0
; COMPUTE_PGM_RSRC2:TGID_X_EN: 1
; COMPUTE_PGM_RSRC2:TGID_Y_EN: 0
; COMPUTE_PGM_RSRC2:TGID_Z_EN: 0
; COMPUTE_PGM_RSRC2:TIDIG_COMP_CNT: 0
	.section	.text._Z39warp_exchange_scatter_to_striped_kernelIiLj128ELj4ELj64EiEvPT3_,"axG",@progbits,_Z39warp_exchange_scatter_to_striped_kernelIiLj128ELj4ELj64EiEvPT3_,comdat
	.protected	_Z39warp_exchange_scatter_to_striped_kernelIiLj128ELj4ELj64EiEvPT3_ ; -- Begin function _Z39warp_exchange_scatter_to_striped_kernelIiLj128ELj4ELj64EiEvPT3_
	.globl	_Z39warp_exchange_scatter_to_striped_kernelIiLj128ELj4ELj64EiEvPT3_
	.p2align	8
	.type	_Z39warp_exchange_scatter_to_striped_kernelIiLj128ELj4ELj64EiEvPT3_,@function
_Z39warp_exchange_scatter_to_striped_kernelIiLj128ELj4ELj64EiEvPT3_: ; @_Z39warp_exchange_scatter_to_striped_kernelIiLj128ELj4ELj64EiEvPT3_
; %bb.0:
	s_endpgm
	.section	.rodata,"a",@progbits
	.p2align	6, 0x0
	.amdhsa_kernel _Z39warp_exchange_scatter_to_striped_kernelIiLj128ELj4ELj64EiEvPT3_
		.amdhsa_group_segment_fixed_size 0
		.amdhsa_private_segment_fixed_size 0
		.amdhsa_kernarg_size 8
		.amdhsa_user_sgpr_count 15
		.amdhsa_user_sgpr_dispatch_ptr 0
		.amdhsa_user_sgpr_queue_ptr 0
		.amdhsa_user_sgpr_kernarg_segment_ptr 1
		.amdhsa_user_sgpr_dispatch_id 0
		.amdhsa_user_sgpr_private_segment_size 0
		.amdhsa_wavefront_size32 1
		.amdhsa_uses_dynamic_stack 0
		.amdhsa_enable_private_segment 0
		.amdhsa_system_sgpr_workgroup_id_x 1
		.amdhsa_system_sgpr_workgroup_id_y 0
		.amdhsa_system_sgpr_workgroup_id_z 0
		.amdhsa_system_sgpr_workgroup_info 0
		.amdhsa_system_vgpr_workitem_id 0
		.amdhsa_next_free_vgpr 1
		.amdhsa_next_free_sgpr 1
		.amdhsa_reserve_vcc 0
		.amdhsa_float_round_mode_32 0
		.amdhsa_float_round_mode_16_64 0
		.amdhsa_float_denorm_mode_32 3
		.amdhsa_float_denorm_mode_16_64 3
		.amdhsa_dx10_clamp 1
		.amdhsa_ieee_mode 1
		.amdhsa_fp16_overflow 0
		.amdhsa_workgroup_processor_mode 1
		.amdhsa_memory_ordered 1
		.amdhsa_forward_progress 0
		.amdhsa_shared_vgpr_count 0
		.amdhsa_exception_fp_ieee_invalid_op 0
		.amdhsa_exception_fp_denorm_src 0
		.amdhsa_exception_fp_ieee_div_zero 0
		.amdhsa_exception_fp_ieee_overflow 0
		.amdhsa_exception_fp_ieee_underflow 0
		.amdhsa_exception_fp_ieee_inexact 0
		.amdhsa_exception_int_div_zero 0
	.end_amdhsa_kernel
	.section	.text._Z39warp_exchange_scatter_to_striped_kernelIiLj128ELj4ELj64EiEvPT3_,"axG",@progbits,_Z39warp_exchange_scatter_to_striped_kernelIiLj128ELj4ELj64EiEvPT3_,comdat
.Lfunc_end23:
	.size	_Z39warp_exchange_scatter_to_striped_kernelIiLj128ELj4ELj64EiEvPT3_, .Lfunc_end23-_Z39warp_exchange_scatter_to_striped_kernelIiLj128ELj4ELj64EiEvPT3_
                                        ; -- End function
	.section	.AMDGPU.csdata,"",@progbits
; Kernel info:
; codeLenInByte = 4
; NumSgprs: 0
; NumVgprs: 0
; ScratchSize: 0
; MemoryBound: 0
; FloatMode: 240
; IeeeMode: 1
; LDSByteSize: 0 bytes/workgroup (compile time only)
; SGPRBlocks: 0
; VGPRBlocks: 0
; NumSGPRsForWavesPerEU: 1
; NumVGPRsForWavesPerEU: 1
; Occupancy: 16
; WaveLimiterHint : 0
; COMPUTE_PGM_RSRC2:SCRATCH_EN: 0
; COMPUTE_PGM_RSRC2:USER_SGPR: 15
; COMPUTE_PGM_RSRC2:TRAP_HANDLER: 0
; COMPUTE_PGM_RSRC2:TGID_X_EN: 1
; COMPUTE_PGM_RSRC2:TGID_Y_EN: 0
; COMPUTE_PGM_RSRC2:TGID_Z_EN: 0
; COMPUTE_PGM_RSRC2:TIDIG_COMP_CNT: 0
	.section	.text._Z20warp_exchange_kernelILj256ELj4ELj64ELN6hipcub21WarpExchangeAlgorithmE0E18StripedToBlockedOpiEvPT4_,"axG",@progbits,_Z20warp_exchange_kernelILj256ELj4ELj64ELN6hipcub21WarpExchangeAlgorithmE0E18StripedToBlockedOpiEvPT4_,comdat
	.protected	_Z20warp_exchange_kernelILj256ELj4ELj64ELN6hipcub21WarpExchangeAlgorithmE0E18StripedToBlockedOpiEvPT4_ ; -- Begin function _Z20warp_exchange_kernelILj256ELj4ELj64ELN6hipcub21WarpExchangeAlgorithmE0E18StripedToBlockedOpiEvPT4_
	.globl	_Z20warp_exchange_kernelILj256ELj4ELj64ELN6hipcub21WarpExchangeAlgorithmE0E18StripedToBlockedOpiEvPT4_
	.p2align	8
	.type	_Z20warp_exchange_kernelILj256ELj4ELj64ELN6hipcub21WarpExchangeAlgorithmE0E18StripedToBlockedOpiEvPT4_,@function
_Z20warp_exchange_kernelILj256ELj4ELj64ELN6hipcub21WarpExchangeAlgorithmE0E18StripedToBlockedOpiEvPT4_: ; @_Z20warp_exchange_kernelILj256ELj4ELj64ELN6hipcub21WarpExchangeAlgorithmE0E18StripedToBlockedOpiEvPT4_
; %bb.0:
	s_endpgm
	.section	.rodata,"a",@progbits
	.p2align	6, 0x0
	.amdhsa_kernel _Z20warp_exchange_kernelILj256ELj4ELj64ELN6hipcub21WarpExchangeAlgorithmE0E18StripedToBlockedOpiEvPT4_
		.amdhsa_group_segment_fixed_size 0
		.amdhsa_private_segment_fixed_size 0
		.amdhsa_kernarg_size 8
		.amdhsa_user_sgpr_count 15
		.amdhsa_user_sgpr_dispatch_ptr 0
		.amdhsa_user_sgpr_queue_ptr 0
		.amdhsa_user_sgpr_kernarg_segment_ptr 1
		.amdhsa_user_sgpr_dispatch_id 0
		.amdhsa_user_sgpr_private_segment_size 0
		.amdhsa_wavefront_size32 1
		.amdhsa_uses_dynamic_stack 0
		.amdhsa_enable_private_segment 0
		.amdhsa_system_sgpr_workgroup_id_x 1
		.amdhsa_system_sgpr_workgroup_id_y 0
		.amdhsa_system_sgpr_workgroup_id_z 0
		.amdhsa_system_sgpr_workgroup_info 0
		.amdhsa_system_vgpr_workitem_id 0
		.amdhsa_next_free_vgpr 1
		.amdhsa_next_free_sgpr 1
		.amdhsa_reserve_vcc 0
		.amdhsa_float_round_mode_32 0
		.amdhsa_float_round_mode_16_64 0
		.amdhsa_float_denorm_mode_32 3
		.amdhsa_float_denorm_mode_16_64 3
		.amdhsa_dx10_clamp 1
		.amdhsa_ieee_mode 1
		.amdhsa_fp16_overflow 0
		.amdhsa_workgroup_processor_mode 1
		.amdhsa_memory_ordered 1
		.amdhsa_forward_progress 0
		.amdhsa_shared_vgpr_count 0
		.amdhsa_exception_fp_ieee_invalid_op 0
		.amdhsa_exception_fp_denorm_src 0
		.amdhsa_exception_fp_ieee_div_zero 0
		.amdhsa_exception_fp_ieee_overflow 0
		.amdhsa_exception_fp_ieee_underflow 0
		.amdhsa_exception_fp_ieee_inexact 0
		.amdhsa_exception_int_div_zero 0
	.end_amdhsa_kernel
	.section	.text._Z20warp_exchange_kernelILj256ELj4ELj64ELN6hipcub21WarpExchangeAlgorithmE0E18StripedToBlockedOpiEvPT4_,"axG",@progbits,_Z20warp_exchange_kernelILj256ELj4ELj64ELN6hipcub21WarpExchangeAlgorithmE0E18StripedToBlockedOpiEvPT4_,comdat
.Lfunc_end24:
	.size	_Z20warp_exchange_kernelILj256ELj4ELj64ELN6hipcub21WarpExchangeAlgorithmE0E18StripedToBlockedOpiEvPT4_, .Lfunc_end24-_Z20warp_exchange_kernelILj256ELj4ELj64ELN6hipcub21WarpExchangeAlgorithmE0E18StripedToBlockedOpiEvPT4_
                                        ; -- End function
	.section	.AMDGPU.csdata,"",@progbits
; Kernel info:
; codeLenInByte = 4
; NumSgprs: 0
; NumVgprs: 0
; ScratchSize: 0
; MemoryBound: 0
; FloatMode: 240
; IeeeMode: 1
; LDSByteSize: 0 bytes/workgroup (compile time only)
; SGPRBlocks: 0
; VGPRBlocks: 0
; NumSGPRsForWavesPerEU: 1
; NumVGPRsForWavesPerEU: 1
; Occupancy: 16
; WaveLimiterHint : 0
; COMPUTE_PGM_RSRC2:SCRATCH_EN: 0
; COMPUTE_PGM_RSRC2:USER_SGPR: 15
; COMPUTE_PGM_RSRC2:TRAP_HANDLER: 0
; COMPUTE_PGM_RSRC2:TGID_X_EN: 1
; COMPUTE_PGM_RSRC2:TGID_Y_EN: 0
; COMPUTE_PGM_RSRC2:TGID_Z_EN: 0
; COMPUTE_PGM_RSRC2:TIDIG_COMP_CNT: 0
	.section	.text._Z20warp_exchange_kernelILj256ELj4ELj64ELN6hipcub21WarpExchangeAlgorithmE1E18StripedToBlockedOpiEvPT4_,"axG",@progbits,_Z20warp_exchange_kernelILj256ELj4ELj64ELN6hipcub21WarpExchangeAlgorithmE1E18StripedToBlockedOpiEvPT4_,comdat
	.protected	_Z20warp_exchange_kernelILj256ELj4ELj64ELN6hipcub21WarpExchangeAlgorithmE1E18StripedToBlockedOpiEvPT4_ ; -- Begin function _Z20warp_exchange_kernelILj256ELj4ELj64ELN6hipcub21WarpExchangeAlgorithmE1E18StripedToBlockedOpiEvPT4_
	.globl	_Z20warp_exchange_kernelILj256ELj4ELj64ELN6hipcub21WarpExchangeAlgorithmE1E18StripedToBlockedOpiEvPT4_
	.p2align	8
	.type	_Z20warp_exchange_kernelILj256ELj4ELj64ELN6hipcub21WarpExchangeAlgorithmE1E18StripedToBlockedOpiEvPT4_,@function
_Z20warp_exchange_kernelILj256ELj4ELj64ELN6hipcub21WarpExchangeAlgorithmE1E18StripedToBlockedOpiEvPT4_: ; @_Z20warp_exchange_kernelILj256ELj4ELj64ELN6hipcub21WarpExchangeAlgorithmE1E18StripedToBlockedOpiEvPT4_
; %bb.0:
	s_endpgm
	.section	.rodata,"a",@progbits
	.p2align	6, 0x0
	.amdhsa_kernel _Z20warp_exchange_kernelILj256ELj4ELj64ELN6hipcub21WarpExchangeAlgorithmE1E18StripedToBlockedOpiEvPT4_
		.amdhsa_group_segment_fixed_size 0
		.amdhsa_private_segment_fixed_size 0
		.amdhsa_kernarg_size 8
		.amdhsa_user_sgpr_count 15
		.amdhsa_user_sgpr_dispatch_ptr 0
		.amdhsa_user_sgpr_queue_ptr 0
		.amdhsa_user_sgpr_kernarg_segment_ptr 1
		.amdhsa_user_sgpr_dispatch_id 0
		.amdhsa_user_sgpr_private_segment_size 0
		.amdhsa_wavefront_size32 1
		.amdhsa_uses_dynamic_stack 0
		.amdhsa_enable_private_segment 0
		.amdhsa_system_sgpr_workgroup_id_x 1
		.amdhsa_system_sgpr_workgroup_id_y 0
		.amdhsa_system_sgpr_workgroup_id_z 0
		.amdhsa_system_sgpr_workgroup_info 0
		.amdhsa_system_vgpr_workitem_id 0
		.amdhsa_next_free_vgpr 1
		.amdhsa_next_free_sgpr 1
		.amdhsa_reserve_vcc 0
		.amdhsa_float_round_mode_32 0
		.amdhsa_float_round_mode_16_64 0
		.amdhsa_float_denorm_mode_32 3
		.amdhsa_float_denorm_mode_16_64 3
		.amdhsa_dx10_clamp 1
		.amdhsa_ieee_mode 1
		.amdhsa_fp16_overflow 0
		.amdhsa_workgroup_processor_mode 1
		.amdhsa_memory_ordered 1
		.amdhsa_forward_progress 0
		.amdhsa_shared_vgpr_count 0
		.amdhsa_exception_fp_ieee_invalid_op 0
		.amdhsa_exception_fp_denorm_src 0
		.amdhsa_exception_fp_ieee_div_zero 0
		.amdhsa_exception_fp_ieee_overflow 0
		.amdhsa_exception_fp_ieee_underflow 0
		.amdhsa_exception_fp_ieee_inexact 0
		.amdhsa_exception_int_div_zero 0
	.end_amdhsa_kernel
	.section	.text._Z20warp_exchange_kernelILj256ELj4ELj64ELN6hipcub21WarpExchangeAlgorithmE1E18StripedToBlockedOpiEvPT4_,"axG",@progbits,_Z20warp_exchange_kernelILj256ELj4ELj64ELN6hipcub21WarpExchangeAlgorithmE1E18StripedToBlockedOpiEvPT4_,comdat
.Lfunc_end25:
	.size	_Z20warp_exchange_kernelILj256ELj4ELj64ELN6hipcub21WarpExchangeAlgorithmE1E18StripedToBlockedOpiEvPT4_, .Lfunc_end25-_Z20warp_exchange_kernelILj256ELj4ELj64ELN6hipcub21WarpExchangeAlgorithmE1E18StripedToBlockedOpiEvPT4_
                                        ; -- End function
	.section	.AMDGPU.csdata,"",@progbits
; Kernel info:
; codeLenInByte = 4
; NumSgprs: 0
; NumVgprs: 0
; ScratchSize: 0
; MemoryBound: 0
; FloatMode: 240
; IeeeMode: 1
; LDSByteSize: 0 bytes/workgroup (compile time only)
; SGPRBlocks: 0
; VGPRBlocks: 0
; NumSGPRsForWavesPerEU: 1
; NumVGPRsForWavesPerEU: 1
; Occupancy: 16
; WaveLimiterHint : 0
; COMPUTE_PGM_RSRC2:SCRATCH_EN: 0
; COMPUTE_PGM_RSRC2:USER_SGPR: 15
; COMPUTE_PGM_RSRC2:TRAP_HANDLER: 0
; COMPUTE_PGM_RSRC2:TGID_X_EN: 1
; COMPUTE_PGM_RSRC2:TGID_Y_EN: 0
; COMPUTE_PGM_RSRC2:TGID_Z_EN: 0
; COMPUTE_PGM_RSRC2:TIDIG_COMP_CNT: 0
	.section	.text._Z20warp_exchange_kernelILj256ELj4ELj64ELN6hipcub21WarpExchangeAlgorithmE0E18BlockedToStripedOpiEvPT4_,"axG",@progbits,_Z20warp_exchange_kernelILj256ELj4ELj64ELN6hipcub21WarpExchangeAlgorithmE0E18BlockedToStripedOpiEvPT4_,comdat
	.protected	_Z20warp_exchange_kernelILj256ELj4ELj64ELN6hipcub21WarpExchangeAlgorithmE0E18BlockedToStripedOpiEvPT4_ ; -- Begin function _Z20warp_exchange_kernelILj256ELj4ELj64ELN6hipcub21WarpExchangeAlgorithmE0E18BlockedToStripedOpiEvPT4_
	.globl	_Z20warp_exchange_kernelILj256ELj4ELj64ELN6hipcub21WarpExchangeAlgorithmE0E18BlockedToStripedOpiEvPT4_
	.p2align	8
	.type	_Z20warp_exchange_kernelILj256ELj4ELj64ELN6hipcub21WarpExchangeAlgorithmE0E18BlockedToStripedOpiEvPT4_,@function
_Z20warp_exchange_kernelILj256ELj4ELj64ELN6hipcub21WarpExchangeAlgorithmE0E18BlockedToStripedOpiEvPT4_: ; @_Z20warp_exchange_kernelILj256ELj4ELj64ELN6hipcub21WarpExchangeAlgorithmE0E18BlockedToStripedOpiEvPT4_
; %bb.0:
	s_endpgm
	.section	.rodata,"a",@progbits
	.p2align	6, 0x0
	.amdhsa_kernel _Z20warp_exchange_kernelILj256ELj4ELj64ELN6hipcub21WarpExchangeAlgorithmE0E18BlockedToStripedOpiEvPT4_
		.amdhsa_group_segment_fixed_size 0
		.amdhsa_private_segment_fixed_size 0
		.amdhsa_kernarg_size 8
		.amdhsa_user_sgpr_count 15
		.amdhsa_user_sgpr_dispatch_ptr 0
		.amdhsa_user_sgpr_queue_ptr 0
		.amdhsa_user_sgpr_kernarg_segment_ptr 1
		.amdhsa_user_sgpr_dispatch_id 0
		.amdhsa_user_sgpr_private_segment_size 0
		.amdhsa_wavefront_size32 1
		.amdhsa_uses_dynamic_stack 0
		.amdhsa_enable_private_segment 0
		.amdhsa_system_sgpr_workgroup_id_x 1
		.amdhsa_system_sgpr_workgroup_id_y 0
		.amdhsa_system_sgpr_workgroup_id_z 0
		.amdhsa_system_sgpr_workgroup_info 0
		.amdhsa_system_vgpr_workitem_id 0
		.amdhsa_next_free_vgpr 1
		.amdhsa_next_free_sgpr 1
		.amdhsa_reserve_vcc 0
		.amdhsa_float_round_mode_32 0
		.amdhsa_float_round_mode_16_64 0
		.amdhsa_float_denorm_mode_32 3
		.amdhsa_float_denorm_mode_16_64 3
		.amdhsa_dx10_clamp 1
		.amdhsa_ieee_mode 1
		.amdhsa_fp16_overflow 0
		.amdhsa_workgroup_processor_mode 1
		.amdhsa_memory_ordered 1
		.amdhsa_forward_progress 0
		.amdhsa_shared_vgpr_count 0
		.amdhsa_exception_fp_ieee_invalid_op 0
		.amdhsa_exception_fp_denorm_src 0
		.amdhsa_exception_fp_ieee_div_zero 0
		.amdhsa_exception_fp_ieee_overflow 0
		.amdhsa_exception_fp_ieee_underflow 0
		.amdhsa_exception_fp_ieee_inexact 0
		.amdhsa_exception_int_div_zero 0
	.end_amdhsa_kernel
	.section	.text._Z20warp_exchange_kernelILj256ELj4ELj64ELN6hipcub21WarpExchangeAlgorithmE0E18BlockedToStripedOpiEvPT4_,"axG",@progbits,_Z20warp_exchange_kernelILj256ELj4ELj64ELN6hipcub21WarpExchangeAlgorithmE0E18BlockedToStripedOpiEvPT4_,comdat
.Lfunc_end26:
	.size	_Z20warp_exchange_kernelILj256ELj4ELj64ELN6hipcub21WarpExchangeAlgorithmE0E18BlockedToStripedOpiEvPT4_, .Lfunc_end26-_Z20warp_exchange_kernelILj256ELj4ELj64ELN6hipcub21WarpExchangeAlgorithmE0E18BlockedToStripedOpiEvPT4_
                                        ; -- End function
	.section	.AMDGPU.csdata,"",@progbits
; Kernel info:
; codeLenInByte = 4
; NumSgprs: 0
; NumVgprs: 0
; ScratchSize: 0
; MemoryBound: 0
; FloatMode: 240
; IeeeMode: 1
; LDSByteSize: 0 bytes/workgroup (compile time only)
; SGPRBlocks: 0
; VGPRBlocks: 0
; NumSGPRsForWavesPerEU: 1
; NumVGPRsForWavesPerEU: 1
; Occupancy: 16
; WaveLimiterHint : 0
; COMPUTE_PGM_RSRC2:SCRATCH_EN: 0
; COMPUTE_PGM_RSRC2:USER_SGPR: 15
; COMPUTE_PGM_RSRC2:TRAP_HANDLER: 0
; COMPUTE_PGM_RSRC2:TGID_X_EN: 1
; COMPUTE_PGM_RSRC2:TGID_Y_EN: 0
; COMPUTE_PGM_RSRC2:TGID_Z_EN: 0
; COMPUTE_PGM_RSRC2:TIDIG_COMP_CNT: 0
	.section	.text._Z20warp_exchange_kernelILj256ELj4ELj64ELN6hipcub21WarpExchangeAlgorithmE1E18BlockedToStripedOpiEvPT4_,"axG",@progbits,_Z20warp_exchange_kernelILj256ELj4ELj64ELN6hipcub21WarpExchangeAlgorithmE1E18BlockedToStripedOpiEvPT4_,comdat
	.protected	_Z20warp_exchange_kernelILj256ELj4ELj64ELN6hipcub21WarpExchangeAlgorithmE1E18BlockedToStripedOpiEvPT4_ ; -- Begin function _Z20warp_exchange_kernelILj256ELj4ELj64ELN6hipcub21WarpExchangeAlgorithmE1E18BlockedToStripedOpiEvPT4_
	.globl	_Z20warp_exchange_kernelILj256ELj4ELj64ELN6hipcub21WarpExchangeAlgorithmE1E18BlockedToStripedOpiEvPT4_
	.p2align	8
	.type	_Z20warp_exchange_kernelILj256ELj4ELj64ELN6hipcub21WarpExchangeAlgorithmE1E18BlockedToStripedOpiEvPT4_,@function
_Z20warp_exchange_kernelILj256ELj4ELj64ELN6hipcub21WarpExchangeAlgorithmE1E18BlockedToStripedOpiEvPT4_: ; @_Z20warp_exchange_kernelILj256ELj4ELj64ELN6hipcub21WarpExchangeAlgorithmE1E18BlockedToStripedOpiEvPT4_
; %bb.0:
	s_endpgm
	.section	.rodata,"a",@progbits
	.p2align	6, 0x0
	.amdhsa_kernel _Z20warp_exchange_kernelILj256ELj4ELj64ELN6hipcub21WarpExchangeAlgorithmE1E18BlockedToStripedOpiEvPT4_
		.amdhsa_group_segment_fixed_size 0
		.amdhsa_private_segment_fixed_size 0
		.amdhsa_kernarg_size 8
		.amdhsa_user_sgpr_count 15
		.amdhsa_user_sgpr_dispatch_ptr 0
		.amdhsa_user_sgpr_queue_ptr 0
		.amdhsa_user_sgpr_kernarg_segment_ptr 1
		.amdhsa_user_sgpr_dispatch_id 0
		.amdhsa_user_sgpr_private_segment_size 0
		.amdhsa_wavefront_size32 1
		.amdhsa_uses_dynamic_stack 0
		.amdhsa_enable_private_segment 0
		.amdhsa_system_sgpr_workgroup_id_x 1
		.amdhsa_system_sgpr_workgroup_id_y 0
		.amdhsa_system_sgpr_workgroup_id_z 0
		.amdhsa_system_sgpr_workgroup_info 0
		.amdhsa_system_vgpr_workitem_id 0
		.amdhsa_next_free_vgpr 1
		.amdhsa_next_free_sgpr 1
		.amdhsa_reserve_vcc 0
		.amdhsa_float_round_mode_32 0
		.amdhsa_float_round_mode_16_64 0
		.amdhsa_float_denorm_mode_32 3
		.amdhsa_float_denorm_mode_16_64 3
		.amdhsa_dx10_clamp 1
		.amdhsa_ieee_mode 1
		.amdhsa_fp16_overflow 0
		.amdhsa_workgroup_processor_mode 1
		.amdhsa_memory_ordered 1
		.amdhsa_forward_progress 0
		.amdhsa_shared_vgpr_count 0
		.amdhsa_exception_fp_ieee_invalid_op 0
		.amdhsa_exception_fp_denorm_src 0
		.amdhsa_exception_fp_ieee_div_zero 0
		.amdhsa_exception_fp_ieee_overflow 0
		.amdhsa_exception_fp_ieee_underflow 0
		.amdhsa_exception_fp_ieee_inexact 0
		.amdhsa_exception_int_div_zero 0
	.end_amdhsa_kernel
	.section	.text._Z20warp_exchange_kernelILj256ELj4ELj64ELN6hipcub21WarpExchangeAlgorithmE1E18BlockedToStripedOpiEvPT4_,"axG",@progbits,_Z20warp_exchange_kernelILj256ELj4ELj64ELN6hipcub21WarpExchangeAlgorithmE1E18BlockedToStripedOpiEvPT4_,comdat
.Lfunc_end27:
	.size	_Z20warp_exchange_kernelILj256ELj4ELj64ELN6hipcub21WarpExchangeAlgorithmE1E18BlockedToStripedOpiEvPT4_, .Lfunc_end27-_Z20warp_exchange_kernelILj256ELj4ELj64ELN6hipcub21WarpExchangeAlgorithmE1E18BlockedToStripedOpiEvPT4_
                                        ; -- End function
	.section	.AMDGPU.csdata,"",@progbits
; Kernel info:
; codeLenInByte = 4
; NumSgprs: 0
; NumVgprs: 0
; ScratchSize: 0
; MemoryBound: 0
; FloatMode: 240
; IeeeMode: 1
; LDSByteSize: 0 bytes/workgroup (compile time only)
; SGPRBlocks: 0
; VGPRBlocks: 0
; NumSGPRsForWavesPerEU: 1
; NumVGPRsForWavesPerEU: 1
; Occupancy: 16
; WaveLimiterHint : 0
; COMPUTE_PGM_RSRC2:SCRATCH_EN: 0
; COMPUTE_PGM_RSRC2:USER_SGPR: 15
; COMPUTE_PGM_RSRC2:TRAP_HANDLER: 0
; COMPUTE_PGM_RSRC2:TGID_X_EN: 1
; COMPUTE_PGM_RSRC2:TGID_Y_EN: 0
; COMPUTE_PGM_RSRC2:TGID_Z_EN: 0
; COMPUTE_PGM_RSRC2:TIDIG_COMP_CNT: 0
	.section	.text._Z39warp_exchange_scatter_to_striped_kernelIiLj256ELj4ELj64EiEvPT3_,"axG",@progbits,_Z39warp_exchange_scatter_to_striped_kernelIiLj256ELj4ELj64EiEvPT3_,comdat
	.protected	_Z39warp_exchange_scatter_to_striped_kernelIiLj256ELj4ELj64EiEvPT3_ ; -- Begin function _Z39warp_exchange_scatter_to_striped_kernelIiLj256ELj4ELj64EiEvPT3_
	.globl	_Z39warp_exchange_scatter_to_striped_kernelIiLj256ELj4ELj64EiEvPT3_
	.p2align	8
	.type	_Z39warp_exchange_scatter_to_striped_kernelIiLj256ELj4ELj64EiEvPT3_,@function
_Z39warp_exchange_scatter_to_striped_kernelIiLj256ELj4ELj64EiEvPT3_: ; @_Z39warp_exchange_scatter_to_striped_kernelIiLj256ELj4ELj64EiEvPT3_
; %bb.0:
	s_endpgm
	.section	.rodata,"a",@progbits
	.p2align	6, 0x0
	.amdhsa_kernel _Z39warp_exchange_scatter_to_striped_kernelIiLj256ELj4ELj64EiEvPT3_
		.amdhsa_group_segment_fixed_size 0
		.amdhsa_private_segment_fixed_size 0
		.amdhsa_kernarg_size 8
		.amdhsa_user_sgpr_count 15
		.amdhsa_user_sgpr_dispatch_ptr 0
		.amdhsa_user_sgpr_queue_ptr 0
		.amdhsa_user_sgpr_kernarg_segment_ptr 1
		.amdhsa_user_sgpr_dispatch_id 0
		.amdhsa_user_sgpr_private_segment_size 0
		.amdhsa_wavefront_size32 1
		.amdhsa_uses_dynamic_stack 0
		.amdhsa_enable_private_segment 0
		.amdhsa_system_sgpr_workgroup_id_x 1
		.amdhsa_system_sgpr_workgroup_id_y 0
		.amdhsa_system_sgpr_workgroup_id_z 0
		.amdhsa_system_sgpr_workgroup_info 0
		.amdhsa_system_vgpr_workitem_id 0
		.amdhsa_next_free_vgpr 1
		.amdhsa_next_free_sgpr 1
		.amdhsa_reserve_vcc 0
		.amdhsa_float_round_mode_32 0
		.amdhsa_float_round_mode_16_64 0
		.amdhsa_float_denorm_mode_32 3
		.amdhsa_float_denorm_mode_16_64 3
		.amdhsa_dx10_clamp 1
		.amdhsa_ieee_mode 1
		.amdhsa_fp16_overflow 0
		.amdhsa_workgroup_processor_mode 1
		.amdhsa_memory_ordered 1
		.amdhsa_forward_progress 0
		.amdhsa_shared_vgpr_count 0
		.amdhsa_exception_fp_ieee_invalid_op 0
		.amdhsa_exception_fp_denorm_src 0
		.amdhsa_exception_fp_ieee_div_zero 0
		.amdhsa_exception_fp_ieee_overflow 0
		.amdhsa_exception_fp_ieee_underflow 0
		.amdhsa_exception_fp_ieee_inexact 0
		.amdhsa_exception_int_div_zero 0
	.end_amdhsa_kernel
	.section	.text._Z39warp_exchange_scatter_to_striped_kernelIiLj256ELj4ELj64EiEvPT3_,"axG",@progbits,_Z39warp_exchange_scatter_to_striped_kernelIiLj256ELj4ELj64EiEvPT3_,comdat
.Lfunc_end28:
	.size	_Z39warp_exchange_scatter_to_striped_kernelIiLj256ELj4ELj64EiEvPT3_, .Lfunc_end28-_Z39warp_exchange_scatter_to_striped_kernelIiLj256ELj4ELj64EiEvPT3_
                                        ; -- End function
	.section	.AMDGPU.csdata,"",@progbits
; Kernel info:
; codeLenInByte = 4
; NumSgprs: 0
; NumVgprs: 0
; ScratchSize: 0
; MemoryBound: 0
; FloatMode: 240
; IeeeMode: 1
; LDSByteSize: 0 bytes/workgroup (compile time only)
; SGPRBlocks: 0
; VGPRBlocks: 0
; NumSGPRsForWavesPerEU: 1
; NumVGPRsForWavesPerEU: 1
; Occupancy: 16
; WaveLimiterHint : 0
; COMPUTE_PGM_RSRC2:SCRATCH_EN: 0
; COMPUTE_PGM_RSRC2:USER_SGPR: 15
; COMPUTE_PGM_RSRC2:TRAP_HANDLER: 0
; COMPUTE_PGM_RSRC2:TGID_X_EN: 1
; COMPUTE_PGM_RSRC2:TGID_Y_EN: 0
; COMPUTE_PGM_RSRC2:TGID_Z_EN: 0
; COMPUTE_PGM_RSRC2:TIDIG_COMP_CNT: 0
	.text
	.p2alignl 7, 3214868480
	.fill 96, 4, 3214868480
	.type	__hip_cuid_95208efc9e134f28,@object ; @__hip_cuid_95208efc9e134f28
	.section	.bss,"aw",@nobits
	.globl	__hip_cuid_95208efc9e134f28
__hip_cuid_95208efc9e134f28:
	.byte	0                               ; 0x0
	.size	__hip_cuid_95208efc9e134f28, 1

	.ident	"AMD clang version 19.0.0git (https://github.com/RadeonOpenCompute/llvm-project roc-6.4.0 25133 c7fe45cf4b819c5991fe208aaa96edf142730f1d)"
	.section	".note.GNU-stack","",@progbits
	.addrsig
	.addrsig_sym __hip_cuid_95208efc9e134f28
	.amdgpu_metadata
---
amdhsa.kernels:
  - .args:
      - .address_space:  global
        .offset:         0
        .size:           8
        .value_kind:     global_buffer
    .group_segment_fixed_size: 2048
    .kernarg_segment_align: 8
    .kernarg_segment_size: 8
    .language:       OpenCL C
    .language_version:
      - 2
      - 0
    .max_flat_workgroup_size: 128
    .name:           _Z20warp_exchange_kernelILj128ELj4ELj16ELN6hipcub21WarpExchangeAlgorithmE0E18StripedToBlockedOpiEvPT4_
    .private_segment_fixed_size: 0
    .sgpr_count:     18
    .sgpr_spill_count: 0
    .symbol:         _Z20warp_exchange_kernelILj128ELj4ELj16ELN6hipcub21WarpExchangeAlgorithmE0E18StripedToBlockedOpiEvPT4_.kd
    .uniform_work_group_size: 1
    .uses_dynamic_stack: false
    .vgpr_count:     7
    .vgpr_spill_count: 0
    .wavefront_size: 32
    .workgroup_processor_mode: 1
  - .args:
      - .address_space:  global
        .offset:         0
        .size:           8
        .value_kind:     global_buffer
    .group_segment_fixed_size: 2048
    .kernarg_segment_align: 8
    .kernarg_segment_size: 8
    .language:       OpenCL C
    .language_version:
      - 2
      - 0
    .max_flat_workgroup_size: 128
    .name:           _Z20warp_exchange_kernelILj128ELj4ELj16ELN6hipcub21WarpExchangeAlgorithmE0E18BlockedToStripedOpiEvPT4_
    .private_segment_fixed_size: 0
    .sgpr_count:     18
    .sgpr_spill_count: 0
    .symbol:         _Z20warp_exchange_kernelILj128ELj4ELj16ELN6hipcub21WarpExchangeAlgorithmE0E18BlockedToStripedOpiEvPT4_.kd
    .uniform_work_group_size: 1
    .uses_dynamic_stack: false
    .vgpr_count:     7
    .vgpr_spill_count: 0
    .wavefront_size: 32
    .workgroup_processor_mode: 1
  - .args:
      - .address_space:  global
        .offset:         0
        .size:           8
        .value_kind:     global_buffer
    .group_segment_fixed_size: 8192
    .kernarg_segment_align: 8
    .kernarg_segment_size: 8
    .language:       OpenCL C
    .language_version:
      - 2
      - 0
    .max_flat_workgroup_size: 128
    .name:           _Z20warp_exchange_kernelILj128ELj16ELj16ELN6hipcub21WarpExchangeAlgorithmE0E18StripedToBlockedOpiEvPT4_
    .private_segment_fixed_size: 0
    .sgpr_count:     18
    .sgpr_spill_count: 0
    .symbol:         _Z20warp_exchange_kernelILj128ELj16ELj16ELN6hipcub21WarpExchangeAlgorithmE0E18StripedToBlockedOpiEvPT4_.kd
    .uniform_work_group_size: 1
    .uses_dynamic_stack: false
    .vgpr_count:     18
    .vgpr_spill_count: 0
    .wavefront_size: 32
    .workgroup_processor_mode: 1
  - .args:
      - .address_space:  global
        .offset:         0
        .size:           8
        .value_kind:     global_buffer
    .group_segment_fixed_size: 8192
    .kernarg_segment_align: 8
    .kernarg_segment_size: 8
    .language:       OpenCL C
    .language_version:
      - 2
      - 0
    .max_flat_workgroup_size: 128
    .name:           _Z20warp_exchange_kernelILj128ELj16ELj16ELN6hipcub21WarpExchangeAlgorithmE0E18BlockedToStripedOpiEvPT4_
    .private_segment_fixed_size: 0
    .sgpr_count:     18
    .sgpr_spill_count: 0
    .symbol:         _Z20warp_exchange_kernelILj128ELj16ELj16ELN6hipcub21WarpExchangeAlgorithmE0E18BlockedToStripedOpiEvPT4_.kd
    .uniform_work_group_size: 1
    .uses_dynamic_stack: false
    .vgpr_count:     19
    .vgpr_spill_count: 0
    .wavefront_size: 32
    .workgroup_processor_mode: 1
  - .args:
      - .address_space:  global
        .offset:         0
        .size:           8
        .value_kind:     global_buffer
    .group_segment_fixed_size: 2048
    .kernarg_segment_align: 8
    .kernarg_segment_size: 8
    .language:       OpenCL C
    .language_version:
      - 2
      - 0
    .max_flat_workgroup_size: 128
    .name:           _Z20warp_exchange_kernelILj128ELj4ELj32ELN6hipcub21WarpExchangeAlgorithmE0E18StripedToBlockedOpiEvPT4_
    .private_segment_fixed_size: 0
    .sgpr_count:     18
    .sgpr_spill_count: 0
    .symbol:         _Z20warp_exchange_kernelILj128ELj4ELj32ELN6hipcub21WarpExchangeAlgorithmE0E18StripedToBlockedOpiEvPT4_.kd
    .uniform_work_group_size: 1
    .uses_dynamic_stack: false
    .vgpr_count:     9
    .vgpr_spill_count: 0
    .wavefront_size: 32
    .workgroup_processor_mode: 1
  - .args:
      - .address_space:  global
        .offset:         0
        .size:           8
        .value_kind:     global_buffer
    .group_segment_fixed_size: 2048
    .kernarg_segment_align: 8
    .kernarg_segment_size: 8
    .language:       OpenCL C
    .language_version:
      - 2
      - 0
    .max_flat_workgroup_size: 128
    .name:           _Z20warp_exchange_kernelILj128ELj4ELj32ELN6hipcub21WarpExchangeAlgorithmE0E18BlockedToStripedOpiEvPT4_
    .private_segment_fixed_size: 0
    .sgpr_count:     18
    .sgpr_spill_count: 0
    .symbol:         _Z20warp_exchange_kernelILj128ELj4ELj32ELN6hipcub21WarpExchangeAlgorithmE0E18BlockedToStripedOpiEvPT4_.kd
    .uniform_work_group_size: 1
    .uses_dynamic_stack: false
    .vgpr_count:     8
    .vgpr_spill_count: 0
    .wavefront_size: 32
    .workgroup_processor_mode: 1
  - .args:
      - .address_space:  global
        .offset:         0
        .size:           8
        .value_kind:     global_buffer
    .group_segment_fixed_size: 4096
    .kernarg_segment_align: 8
    .kernarg_segment_size: 8
    .language:       OpenCL C
    .language_version:
      - 2
      - 0
    .max_flat_workgroup_size: 256
    .name:           _Z20warp_exchange_kernelILj256ELj4ELj32ELN6hipcub21WarpExchangeAlgorithmE0E18StripedToBlockedOpiEvPT4_
    .private_segment_fixed_size: 0
    .sgpr_count:     18
    .sgpr_spill_count: 0
    .symbol:         _Z20warp_exchange_kernelILj256ELj4ELj32ELN6hipcub21WarpExchangeAlgorithmE0E18StripedToBlockedOpiEvPT4_.kd
    .uniform_work_group_size: 1
    .uses_dynamic_stack: false
    .vgpr_count:     9
    .vgpr_spill_count: 0
    .wavefront_size: 32
    .workgroup_processor_mode: 1
  - .args:
      - .address_space:  global
        .offset:         0
        .size:           8
        .value_kind:     global_buffer
    .group_segment_fixed_size: 4096
    .kernarg_segment_align: 8
    .kernarg_segment_size: 8
    .language:       OpenCL C
    .language_version:
      - 2
      - 0
    .max_flat_workgroup_size: 256
    .name:           _Z20warp_exchange_kernelILj256ELj4ELj32ELN6hipcub21WarpExchangeAlgorithmE0E18BlockedToStripedOpiEvPT4_
    .private_segment_fixed_size: 0
    .sgpr_count:     18
    .sgpr_spill_count: 0
    .symbol:         _Z20warp_exchange_kernelILj256ELj4ELj32ELN6hipcub21WarpExchangeAlgorithmE0E18BlockedToStripedOpiEvPT4_.kd
    .uniform_work_group_size: 1
    .uses_dynamic_stack: false
    .vgpr_count:     8
    .vgpr_spill_count: 0
    .wavefront_size: 32
    .workgroup_processor_mode: 1
  - .args:
      - .address_space:  global
        .offset:         0
        .size:           8
        .value_kind:     global_buffer
    .group_segment_fixed_size: 2048
    .kernarg_segment_align: 8
    .kernarg_segment_size: 8
    .language:       OpenCL C
    .language_version:
      - 2
      - 0
    .max_flat_workgroup_size: 128
    .name:           _Z39warp_exchange_scatter_to_striped_kernelIiLj128ELj4ELj16EiEvPT3_
    .private_segment_fixed_size: 0
    .sgpr_count:     18
    .sgpr_spill_count: 0
    .symbol:         _Z39warp_exchange_scatter_to_striped_kernelIiLj128ELj4ELj16EiEvPT3_.kd
    .uniform_work_group_size: 1
    .uses_dynamic_stack: false
    .vgpr_count:     13
    .vgpr_spill_count: 0
    .wavefront_size: 32
    .workgroup_processor_mode: 1
  - .args:
      - .address_space:  global
        .offset:         0
        .size:           8
        .value_kind:     global_buffer
    .group_segment_fixed_size: 2048
    .kernarg_segment_align: 8
    .kernarg_segment_size: 8
    .language:       OpenCL C
    .language_version:
      - 2
      - 0
    .max_flat_workgroup_size: 128
    .name:           _Z39warp_exchange_scatter_to_striped_kernelIiLj128ELj4ELj32EiEvPT3_
    .private_segment_fixed_size: 0
    .sgpr_count:     18
    .sgpr_spill_count: 0
    .symbol:         _Z39warp_exchange_scatter_to_striped_kernelIiLj128ELj4ELj32EiEvPT3_.kd
    .uniform_work_group_size: 1
    .uses_dynamic_stack: false
    .vgpr_count:     13
    .vgpr_spill_count: 0
    .wavefront_size: 32
    .workgroup_processor_mode: 1
  - .args:
      - .address_space:  global
        .offset:         0
        .size:           8
        .value_kind:     global_buffer
    .group_segment_fixed_size: 4096
    .kernarg_segment_align: 8
    .kernarg_segment_size: 8
    .language:       OpenCL C
    .language_version:
      - 2
      - 0
    .max_flat_workgroup_size: 256
    .name:           _Z39warp_exchange_scatter_to_striped_kernelIiLj256ELj4ELj32EiEvPT3_
    .private_segment_fixed_size: 0
    .sgpr_count:     18
    .sgpr_spill_count: 0
    .symbol:         _Z39warp_exchange_scatter_to_striped_kernelIiLj256ELj4ELj32EiEvPT3_.kd
    .uniform_work_group_size: 1
    .uses_dynamic_stack: false
    .vgpr_count:     13
    .vgpr_spill_count: 0
    .wavefront_size: 32
    .workgroup_processor_mode: 1
  - .args:
      - .address_space:  global
        .offset:         0
        .size:           8
        .value_kind:     global_buffer
    .group_segment_fixed_size: 8192
    .kernarg_segment_align: 8
    .kernarg_segment_size: 8
    .language:       OpenCL C
    .language_version:
      - 2
      - 0
    .max_flat_workgroup_size: 128
    .name:           _Z20warp_exchange_kernelILj128ELj16ELj16ELN6hipcub21WarpExchangeAlgorithmE1E18StripedToBlockedOpiEvPT4_
    .private_segment_fixed_size: 0
    .sgpr_count:     18
    .sgpr_spill_count: 0
    .symbol:         _Z20warp_exchange_kernelILj128ELj16ELj16ELN6hipcub21WarpExchangeAlgorithmE1E18StripedToBlockedOpiEvPT4_.kd
    .uniform_work_group_size: 1
    .uses_dynamic_stack: false
    .vgpr_count:     22
    .vgpr_spill_count: 0
    .wavefront_size: 32
    .workgroup_processor_mode: 1
  - .args:
      - .address_space:  global
        .offset:         0
        .size:           8
        .value_kind:     global_buffer
    .group_segment_fixed_size: 8192
    .kernarg_segment_align: 8
    .kernarg_segment_size: 8
    .language:       OpenCL C
    .language_version:
      - 2
      - 0
    .max_flat_workgroup_size: 128
    .name:           _Z20warp_exchange_kernelILj128ELj16ELj16ELN6hipcub21WarpExchangeAlgorithmE1E18BlockedToStripedOpiEvPT4_
    .private_segment_fixed_size: 0
    .sgpr_count:     18
    .sgpr_spill_count: 0
    .symbol:         _Z20warp_exchange_kernelILj128ELj16ELj16ELN6hipcub21WarpExchangeAlgorithmE1E18BlockedToStripedOpiEvPT4_.kd
    .uniform_work_group_size: 1
    .uses_dynamic_stack: false
    .vgpr_count:     22
    .vgpr_spill_count: 0
    .wavefront_size: 32
    .workgroup_processor_mode: 1
  - .args:
      - .address_space:  global
        .offset:         0
        .size:           8
        .value_kind:     global_buffer
    .group_segment_fixed_size: 0
    .kernarg_segment_align: 8
    .kernarg_segment_size: 8
    .language:       OpenCL C
    .language_version:
      - 2
      - 0
    .max_flat_workgroup_size: 128
    .name:           _Z20warp_exchange_kernelILj128ELj4ELj16ELN6hipcub21WarpExchangeAlgorithmE1E18StripedToBlockedOpiEvPT4_
    .private_segment_fixed_size: 0
    .sgpr_count:     18
    .sgpr_spill_count: 0
    .symbol:         _Z20warp_exchange_kernelILj128ELj4ELj16ELN6hipcub21WarpExchangeAlgorithmE1E18StripedToBlockedOpiEvPT4_.kd
    .uniform_work_group_size: 1
    .uses_dynamic_stack: false
    .vgpr_count:     20
    .vgpr_spill_count: 0
    .wavefront_size: 32
    .workgroup_processor_mode: 1
  - .args:
      - .address_space:  global
        .offset:         0
        .size:           8
        .value_kind:     global_buffer
    .group_segment_fixed_size: 0
    .kernarg_segment_align: 8
    .kernarg_segment_size: 8
    .language:       OpenCL C
    .language_version:
      - 2
      - 0
    .max_flat_workgroup_size: 128
    .name:           _Z20warp_exchange_kernelILj128ELj4ELj16ELN6hipcub21WarpExchangeAlgorithmE1E18BlockedToStripedOpiEvPT4_
    .private_segment_fixed_size: 0
    .sgpr_count:     18
    .sgpr_spill_count: 0
    .symbol:         _Z20warp_exchange_kernelILj128ELj4ELj16ELN6hipcub21WarpExchangeAlgorithmE1E18BlockedToStripedOpiEvPT4_.kd
    .uniform_work_group_size: 1
    .uses_dynamic_stack: false
    .vgpr_count:     20
    .vgpr_spill_count: 0
    .wavefront_size: 32
    .workgroup_processor_mode: 1
  - .args:
      - .address_space:  global
        .offset:         0
        .size:           8
        .value_kind:     global_buffer
    .group_segment_fixed_size: 0
    .kernarg_segment_align: 8
    .kernarg_segment_size: 8
    .language:       OpenCL C
    .language_version:
      - 2
      - 0
    .max_flat_workgroup_size: 128
    .name:           _Z20warp_exchange_kernelILj128ELj4ELj32ELN6hipcub21WarpExchangeAlgorithmE1E18StripedToBlockedOpiEvPT4_
    .private_segment_fixed_size: 0
    .sgpr_count:     18
    .sgpr_spill_count: 0
    .symbol:         _Z20warp_exchange_kernelILj128ELj4ELj32ELN6hipcub21WarpExchangeAlgorithmE1E18StripedToBlockedOpiEvPT4_.kd
    .uniform_work_group_size: 1
    .uses_dynamic_stack: false
    .vgpr_count:     20
    .vgpr_spill_count: 0
    .wavefront_size: 32
    .workgroup_processor_mode: 1
  - .args:
      - .address_space:  global
        .offset:         0
        .size:           8
        .value_kind:     global_buffer
    .group_segment_fixed_size: 0
    .kernarg_segment_align: 8
    .kernarg_segment_size: 8
    .language:       OpenCL C
    .language_version:
      - 2
      - 0
    .max_flat_workgroup_size: 128
    .name:           _Z20warp_exchange_kernelILj128ELj4ELj32ELN6hipcub21WarpExchangeAlgorithmE1E18BlockedToStripedOpiEvPT4_
    .private_segment_fixed_size: 0
    .sgpr_count:     18
    .sgpr_spill_count: 0
    .symbol:         _Z20warp_exchange_kernelILj128ELj4ELj32ELN6hipcub21WarpExchangeAlgorithmE1E18BlockedToStripedOpiEvPT4_.kd
    .uniform_work_group_size: 1
    .uses_dynamic_stack: false
    .vgpr_count:     20
    .vgpr_spill_count: 0
    .wavefront_size: 32
    .workgroup_processor_mode: 1
  - .args:
      - .address_space:  global
        .offset:         0
        .size:           8
        .value_kind:     global_buffer
    .group_segment_fixed_size: 0
    .kernarg_segment_align: 8
    .kernarg_segment_size: 8
    .language:       OpenCL C
    .language_version:
      - 2
      - 0
    .max_flat_workgroup_size: 256
    .name:           _Z20warp_exchange_kernelILj256ELj4ELj32ELN6hipcub21WarpExchangeAlgorithmE1E18StripedToBlockedOpiEvPT4_
    .private_segment_fixed_size: 0
    .sgpr_count:     18
    .sgpr_spill_count: 0
    .symbol:         _Z20warp_exchange_kernelILj256ELj4ELj32ELN6hipcub21WarpExchangeAlgorithmE1E18StripedToBlockedOpiEvPT4_.kd
    .uniform_work_group_size: 1
    .uses_dynamic_stack: false
    .vgpr_count:     20
    .vgpr_spill_count: 0
    .wavefront_size: 32
    .workgroup_processor_mode: 1
  - .args:
      - .address_space:  global
        .offset:         0
        .size:           8
        .value_kind:     global_buffer
    .group_segment_fixed_size: 0
    .kernarg_segment_align: 8
    .kernarg_segment_size: 8
    .language:       OpenCL C
    .language_version:
      - 2
      - 0
    .max_flat_workgroup_size: 256
    .name:           _Z20warp_exchange_kernelILj256ELj4ELj32ELN6hipcub21WarpExchangeAlgorithmE1E18BlockedToStripedOpiEvPT4_
    .private_segment_fixed_size: 0
    .sgpr_count:     18
    .sgpr_spill_count: 0
    .symbol:         _Z20warp_exchange_kernelILj256ELj4ELj32ELN6hipcub21WarpExchangeAlgorithmE1E18BlockedToStripedOpiEvPT4_.kd
    .uniform_work_group_size: 1
    .uses_dynamic_stack: false
    .vgpr_count:     20
    .vgpr_spill_count: 0
    .wavefront_size: 32
    .workgroup_processor_mode: 1
  - .args:
      - .address_space:  global
        .offset:         0
        .size:           8
        .value_kind:     global_buffer
    .group_segment_fixed_size: 0
    .kernarg_segment_align: 8
    .kernarg_segment_size: 8
    .language:       OpenCL C
    .language_version:
      - 2
      - 0
    .max_flat_workgroup_size: 128
    .name:           _Z20warp_exchange_kernelILj128ELj4ELj64ELN6hipcub21WarpExchangeAlgorithmE0E18StripedToBlockedOpiEvPT4_
    .private_segment_fixed_size: 0
    .sgpr_count:     0
    .sgpr_spill_count: 0
    .symbol:         _Z20warp_exchange_kernelILj128ELj4ELj64ELN6hipcub21WarpExchangeAlgorithmE0E18StripedToBlockedOpiEvPT4_.kd
    .uniform_work_group_size: 1
    .uses_dynamic_stack: false
    .vgpr_count:     0
    .vgpr_spill_count: 0
    .wavefront_size: 32
    .workgroup_processor_mode: 1
  - .args:
      - .address_space:  global
        .offset:         0
        .size:           8
        .value_kind:     global_buffer
    .group_segment_fixed_size: 0
    .kernarg_segment_align: 8
    .kernarg_segment_size: 8
    .language:       OpenCL C
    .language_version:
      - 2
      - 0
    .max_flat_workgroup_size: 128
    .name:           _Z20warp_exchange_kernelILj128ELj4ELj64ELN6hipcub21WarpExchangeAlgorithmE1E18StripedToBlockedOpiEvPT4_
    .private_segment_fixed_size: 0
    .sgpr_count:     0
    .sgpr_spill_count: 0
    .symbol:         _Z20warp_exchange_kernelILj128ELj4ELj64ELN6hipcub21WarpExchangeAlgorithmE1E18StripedToBlockedOpiEvPT4_.kd
    .uniform_work_group_size: 1
    .uses_dynamic_stack: false
    .vgpr_count:     0
    .vgpr_spill_count: 0
    .wavefront_size: 32
    .workgroup_processor_mode: 1
  - .args:
      - .address_space:  global
        .offset:         0
        .size:           8
        .value_kind:     global_buffer
    .group_segment_fixed_size: 0
    .kernarg_segment_align: 8
    .kernarg_segment_size: 8
    .language:       OpenCL C
    .language_version:
      - 2
      - 0
    .max_flat_workgroup_size: 128
    .name:           _Z20warp_exchange_kernelILj128ELj4ELj64ELN6hipcub21WarpExchangeAlgorithmE0E18BlockedToStripedOpiEvPT4_
    .private_segment_fixed_size: 0
    .sgpr_count:     0
    .sgpr_spill_count: 0
    .symbol:         _Z20warp_exchange_kernelILj128ELj4ELj64ELN6hipcub21WarpExchangeAlgorithmE0E18BlockedToStripedOpiEvPT4_.kd
    .uniform_work_group_size: 1
    .uses_dynamic_stack: false
    .vgpr_count:     0
    .vgpr_spill_count: 0
    .wavefront_size: 32
    .workgroup_processor_mode: 1
  - .args:
      - .address_space:  global
        .offset:         0
        .size:           8
        .value_kind:     global_buffer
    .group_segment_fixed_size: 0
    .kernarg_segment_align: 8
    .kernarg_segment_size: 8
    .language:       OpenCL C
    .language_version:
      - 2
      - 0
    .max_flat_workgroup_size: 128
    .name:           _Z20warp_exchange_kernelILj128ELj4ELj64ELN6hipcub21WarpExchangeAlgorithmE1E18BlockedToStripedOpiEvPT4_
    .private_segment_fixed_size: 0
    .sgpr_count:     0
    .sgpr_spill_count: 0
    .symbol:         _Z20warp_exchange_kernelILj128ELj4ELj64ELN6hipcub21WarpExchangeAlgorithmE1E18BlockedToStripedOpiEvPT4_.kd
    .uniform_work_group_size: 1
    .uses_dynamic_stack: false
    .vgpr_count:     0
    .vgpr_spill_count: 0
    .wavefront_size: 32
    .workgroup_processor_mode: 1
  - .args:
      - .address_space:  global
        .offset:         0
        .size:           8
        .value_kind:     global_buffer
    .group_segment_fixed_size: 0
    .kernarg_segment_align: 8
    .kernarg_segment_size: 8
    .language:       OpenCL C
    .language_version:
      - 2
      - 0
    .max_flat_workgroup_size: 128
    .name:           _Z39warp_exchange_scatter_to_striped_kernelIiLj128ELj4ELj64EiEvPT3_
    .private_segment_fixed_size: 0
    .sgpr_count:     0
    .sgpr_spill_count: 0
    .symbol:         _Z39warp_exchange_scatter_to_striped_kernelIiLj128ELj4ELj64EiEvPT3_.kd
    .uniform_work_group_size: 1
    .uses_dynamic_stack: false
    .vgpr_count:     0
    .vgpr_spill_count: 0
    .wavefront_size: 32
    .workgroup_processor_mode: 1
  - .args:
      - .address_space:  global
        .offset:         0
        .size:           8
        .value_kind:     global_buffer
    .group_segment_fixed_size: 0
    .kernarg_segment_align: 8
    .kernarg_segment_size: 8
    .language:       OpenCL C
    .language_version:
      - 2
      - 0
    .max_flat_workgroup_size: 256
    .name:           _Z20warp_exchange_kernelILj256ELj4ELj64ELN6hipcub21WarpExchangeAlgorithmE0E18StripedToBlockedOpiEvPT4_
    .private_segment_fixed_size: 0
    .sgpr_count:     0
    .sgpr_spill_count: 0
    .symbol:         _Z20warp_exchange_kernelILj256ELj4ELj64ELN6hipcub21WarpExchangeAlgorithmE0E18StripedToBlockedOpiEvPT4_.kd
    .uniform_work_group_size: 1
    .uses_dynamic_stack: false
    .vgpr_count:     0
    .vgpr_spill_count: 0
    .wavefront_size: 32
    .workgroup_processor_mode: 1
  - .args:
      - .address_space:  global
        .offset:         0
        .size:           8
        .value_kind:     global_buffer
    .group_segment_fixed_size: 0
    .kernarg_segment_align: 8
    .kernarg_segment_size: 8
    .language:       OpenCL C
    .language_version:
      - 2
      - 0
    .max_flat_workgroup_size: 256
    .name:           _Z20warp_exchange_kernelILj256ELj4ELj64ELN6hipcub21WarpExchangeAlgorithmE1E18StripedToBlockedOpiEvPT4_
    .private_segment_fixed_size: 0
    .sgpr_count:     0
    .sgpr_spill_count: 0
    .symbol:         _Z20warp_exchange_kernelILj256ELj4ELj64ELN6hipcub21WarpExchangeAlgorithmE1E18StripedToBlockedOpiEvPT4_.kd
    .uniform_work_group_size: 1
    .uses_dynamic_stack: false
    .vgpr_count:     0
    .vgpr_spill_count: 0
    .wavefront_size: 32
    .workgroup_processor_mode: 1
  - .args:
      - .address_space:  global
        .offset:         0
        .size:           8
        .value_kind:     global_buffer
    .group_segment_fixed_size: 0
    .kernarg_segment_align: 8
    .kernarg_segment_size: 8
    .language:       OpenCL C
    .language_version:
      - 2
      - 0
    .max_flat_workgroup_size: 256
    .name:           _Z20warp_exchange_kernelILj256ELj4ELj64ELN6hipcub21WarpExchangeAlgorithmE0E18BlockedToStripedOpiEvPT4_
    .private_segment_fixed_size: 0
    .sgpr_count:     0
    .sgpr_spill_count: 0
    .symbol:         _Z20warp_exchange_kernelILj256ELj4ELj64ELN6hipcub21WarpExchangeAlgorithmE0E18BlockedToStripedOpiEvPT4_.kd
    .uniform_work_group_size: 1
    .uses_dynamic_stack: false
    .vgpr_count:     0
    .vgpr_spill_count: 0
    .wavefront_size: 32
    .workgroup_processor_mode: 1
  - .args:
      - .address_space:  global
        .offset:         0
        .size:           8
        .value_kind:     global_buffer
    .group_segment_fixed_size: 0
    .kernarg_segment_align: 8
    .kernarg_segment_size: 8
    .language:       OpenCL C
    .language_version:
      - 2
      - 0
    .max_flat_workgroup_size: 256
    .name:           _Z20warp_exchange_kernelILj256ELj4ELj64ELN6hipcub21WarpExchangeAlgorithmE1E18BlockedToStripedOpiEvPT4_
    .private_segment_fixed_size: 0
    .sgpr_count:     0
    .sgpr_spill_count: 0
    .symbol:         _Z20warp_exchange_kernelILj256ELj4ELj64ELN6hipcub21WarpExchangeAlgorithmE1E18BlockedToStripedOpiEvPT4_.kd
    .uniform_work_group_size: 1
    .uses_dynamic_stack: false
    .vgpr_count:     0
    .vgpr_spill_count: 0
    .wavefront_size: 32
    .workgroup_processor_mode: 1
  - .args:
      - .address_space:  global
        .offset:         0
        .size:           8
        .value_kind:     global_buffer
    .group_segment_fixed_size: 0
    .kernarg_segment_align: 8
    .kernarg_segment_size: 8
    .language:       OpenCL C
    .language_version:
      - 2
      - 0
    .max_flat_workgroup_size: 256
    .name:           _Z39warp_exchange_scatter_to_striped_kernelIiLj256ELj4ELj64EiEvPT3_
    .private_segment_fixed_size: 0
    .sgpr_count:     0
    .sgpr_spill_count: 0
    .symbol:         _Z39warp_exchange_scatter_to_striped_kernelIiLj256ELj4ELj64EiEvPT3_.kd
    .uniform_work_group_size: 1
    .uses_dynamic_stack: false
    .vgpr_count:     0
    .vgpr_spill_count: 0
    .wavefront_size: 32
    .workgroup_processor_mode: 1
amdhsa.target:   amdgcn-amd-amdhsa--gfx1100
amdhsa.version:
  - 1
  - 2
...

	.end_amdgpu_metadata
